;; amdgpu-corpus repo=ROCm/rocFFT kind=compiled arch=gfx1030 opt=O3
	.text
	.amdgcn_target "amdgcn-amd-amdhsa--gfx1030"
	.amdhsa_code_object_version 6
	.protected	bluestein_single_back_len1144_dim1_dp_op_CI_CI ; -- Begin function bluestein_single_back_len1144_dim1_dp_op_CI_CI
	.globl	bluestein_single_back_len1144_dim1_dp_op_CI_CI
	.p2align	8
	.type	bluestein_single_back_len1144_dim1_dp_op_CI_CI,@function
bluestein_single_back_len1144_dim1_dp_op_CI_CI: ; @bluestein_single_back_len1144_dim1_dp_op_CI_CI
; %bb.0:
	v_mul_u32_u24_e32 v1, 0x277, v0
	s_mov_b64 s[50:51], s[2:3]
	s_mov_b64 s[48:49], s[0:1]
	s_load_dwordx4 s[0:3], s[4:5], 0x28
	s_add_u32 s48, s48, s7
	v_lshrrev_b32_e32 v1, 16, v1
	s_addc_u32 s49, s49, 0
	v_mov_b32_e32 v4, 0
	v_add_nc_u32_e32 v3, s6, v1
	v_mov_b32_e32 v2, v3
	buffer_store_dword v2, off, s[48:51], 0 offset:4 ; 4-byte Folded Spill
	buffer_store_dword v3, off, s[48:51], 0 offset:8 ; 4-byte Folded Spill
	s_waitcnt lgkmcnt(0)
	v_cmp_gt_u64_e32 vcc_lo, s[0:1], v[3:4]
	s_and_saveexec_b32 s0, vcc_lo
	s_cbranch_execz .LBB0_23
; %bb.1:
	s_clause 0x1
	s_load_dwordx2 s[14:15], s[4:5], 0x0
	s_load_dwordx2 s[12:13], s[4:5], 0x38
	v_mul_lo_u16 v1, 0x68, v1
	v_sub_nc_u16 v0, v0, v1
	v_and_b32_e32 v1, 0xffff, v0
	v_cmp_gt_u16_e32 vcc_lo, 0x58, v0
	v_lshlrev_b32_e32 v255, 4, v1
	buffer_store_dword v1, off, s[48:51], 0 ; 4-byte Folded Spill
	s_and_saveexec_b32 s1, vcc_lo
	s_cbranch_execz .LBB0_3
; %bb.2:
	s_load_dwordx2 s[6:7], s[4:5], 0x18
	s_waitcnt lgkmcnt(0)
	v_add_co_u32 v14, s0, s14, v255
	v_add_co_ci_u32_e64 v15, null, s15, 0, s0
	v_add_co_u32 v8, s0, 0x800, v14
	v_add_co_ci_u32_e64 v9, s0, 0, v15, s0
	v_add_co_u32 v16, s0, 0x1000, v14
	v_add_co_ci_u32_e64 v17, s0, 0, v15, s0
	;; [unrolled: 2-line block ×3, first 2 shown]
	v_add_co_u32 v28, s0, 0x2000, v14
	s_load_dwordx4 s[8:11], s[6:7], 0x0
	s_clause 0x1
	global_load_dwordx4 v[0:3], v255, s[14:15]
	global_load_dwordx4 v[4:7], v255, s[14:15] offset:1408
	s_clause 0x2
	buffer_load_dword v10, off, s[48:51], 0 offset:4
	buffer_load_dword v11, off, s[48:51], 0 offset:8
	buffer_load_dword v18, off, s[48:51], 0
	v_add_co_ci_u32_e64 v29, s0, 0, v15, s0
	v_add_co_u32 v34, s0, 0x2800, v14
	v_add_co_ci_u32_e64 v35, s0, 0, v15, s0
	v_add_co_u32 v40, s0, 0x3000, v14
	;; [unrolled: 2-line block ×4, first 2 shown]
	v_add_co_ci_u32_e64 v97, s0, 0, v15, s0
	s_waitcnt lgkmcnt(0)
	s_mul_i32 s6, s9, 0x580
	s_mul_hi_u32 s7, s8, 0x580
	s_add_i32 s7, s7, s6
	s_waitcnt vmcnt(2)
	v_mov_b32_e32 v12, v10
	s_waitcnt vmcnt(0)
	v_mad_u64_u32 v[32:33], null, s8, v18, 0
	v_mad_u64_u32 v[24:25], null, s10, v12, 0
	v_mov_b32_e32 v11, v33
	v_mov_b32_e32 v10, v25
	v_mad_u64_u32 v[12:13], null, s11, v12, v[10:11]
	v_mad_u64_u32 v[26:27], null, s9, v18, v[11:12]
	v_mov_b32_e32 v25, v12
	s_clause 0x3
	global_load_dwordx4 v[8:11], v[8:9], off offset:768
	global_load_dwordx4 v[12:15], v[16:17], off offset:128
	;; [unrolled: 1-line block ×4, first 2 shown]
	v_lshlrev_b64 v[36:37], 4, v[24:25]
	v_mov_b32_e32 v33, v26
	s_clause 0x1
	global_load_dwordx4 v[24:27], v[28:29], off offset:256
	global_load_dwordx4 v[28:31], v[28:29], off offset:1664
	v_add_co_u32 v36, s0, s2, v36
	v_lshlrev_b64 v[32:33], 4, v[32:33]
	v_add_co_ci_u32_e64 v37, s0, s3, v37, s0
	s_mul_i32 s2, s8, 0x580
	v_add_co_u32 v44, s0, v36, v32
	v_add_co_ci_u32_e64 v45, s0, v37, v33, s0
	global_load_dwordx4 v[32:35], v[34:35], off offset:1024
	v_add_co_u32 v48, s0, v44, s2
	v_add_co_ci_u32_e64 v49, s0, s7, v45, s0
	s_clause 0x1
	global_load_dwordx4 v[36:39], v[40:41], off offset:384
	global_load_dwordx4 v[40:43], v[40:41], off offset:1792
	v_add_co_u32 v52, s0, v48, s2
	v_add_co_ci_u32_e64 v53, s0, s7, v49, s0
	s_clause 0x1
	global_load_dwordx4 v[44:47], v[44:45], off
	global_load_dwordx4 v[48:51], v[48:49], off
	v_add_co_u32 v56, s0, v52, s2
	v_add_co_ci_u32_e64 v57, s0, s7, v53, s0
	global_load_dwordx4 v[52:55], v[52:53], off
	v_add_co_u32 v60, s0, v56, s2
	v_add_co_ci_u32_e64 v61, s0, s7, v57, s0
	;; [unrolled: 3-line block ×9, first 2 shown]
	v_add_co_u32 v100, s0, v92, s2
	v_add_co_ci_u32_e64 v101, s0, s7, v93, s0
	global_load_dwordx4 v[84:87], v[84:85], off
	global_load_dwordx4 v[88:91], v[88:89], off offset:1152
	global_load_dwordx4 v[92:95], v[92:93], off
	global_load_dwordx4 v[96:99], v[96:97], off offset:512
	global_load_dwordx4 v[100:103], v[100:101], off
	s_waitcnt vmcnt(14)
	v_mul_f64 v[104:105], v[46:47], v[2:3]
	v_mul_f64 v[2:3], v[44:45], v[2:3]
	s_waitcnt vmcnt(13)
	v_mul_f64 v[106:107], v[50:51], v[6:7]
	v_mul_f64 v[6:7], v[48:49], v[6:7]
	;; [unrolled: 3-line block ×5, first 2 shown]
	v_fma_f64 v[44:45], v[44:45], v[0:1], v[104:105]
	s_waitcnt vmcnt(9)
	v_mul_f64 v[104:105], v[66:67], v[22:23]
	v_mul_f64 v[22:23], v[64:65], v[22:23]
	v_fma_f64 v[46:47], v[46:47], v[0:1], -v[2:3]
	v_fma_f64 v[0:1], v[48:49], v[4:5], v[106:107]
	s_waitcnt vmcnt(8)
	v_mul_f64 v[48:49], v[70:71], v[26:27]
	v_mul_f64 v[26:27], v[68:69], v[26:27]
	v_fma_f64 v[2:3], v[50:51], v[4:5], -v[6:7]
	;; [unrolled: 5-line block ×3, first 2 shown]
	v_fma_f64 v[8:9], v[56:57], v[12:13], v[110:111]
	v_fma_f64 v[10:11], v[58:59], v[12:13], -v[14:15]
	s_waitcnt vmcnt(6)
	v_mul_f64 v[106:107], v[78:79], v[34:35]
	v_mul_f64 v[34:35], v[76:77], v[34:35]
	v_fma_f64 v[12:13], v[60:61], v[16:17], v[112:113]
	v_fma_f64 v[14:15], v[62:63], v[16:17], -v[18:19]
	s_waitcnt vmcnt(5)
	v_mul_f64 v[114:115], v[82:83], v[38:39]
	v_mul_f64 v[38:39], v[80:81], v[38:39]
	;; [unrolled: 5-line block ×3, first 2 shown]
	s_waitcnt vmcnt(2)
	v_mul_f64 v[118:119], v[94:95], v[90:91]
	v_mul_f64 v[90:91], v[92:93], v[90:91]
	s_waitcnt vmcnt(0)
	v_mul_f64 v[120:121], v[102:103], v[98:99]
	v_mul_f64 v[98:99], v[100:101], v[98:99]
	v_fma_f64 v[20:21], v[68:69], v[24:25], v[48:49]
	v_fma_f64 v[22:23], v[70:71], v[24:25], -v[26:27]
	v_fma_f64 v[24:25], v[72:73], v[28:29], v[50:51]
	v_fma_f64 v[26:27], v[74:75], v[28:29], -v[30:31]
	;; [unrolled: 2-line block ×7, first 2 shown]
	ds_write_b128 v255, v[44:47]
	ds_write_b128 v255, v[0:3] offset:1408
	ds_write_b128 v255, v[4:7] offset:2816
	ds_write_b128 v255, v[8:11] offset:4224
	ds_write_b128 v255, v[12:15] offset:5632
	ds_write_b128 v255, v[16:19] offset:7040
	ds_write_b128 v255, v[20:23] offset:8448
	ds_write_b128 v255, v[24:27] offset:9856
	ds_write_b128 v255, v[28:31] offset:11264
	ds_write_b128 v255, v[32:35] offset:12672
	ds_write_b128 v255, v[36:39] offset:14080
	ds_write_b128 v255, v[40:43] offset:15488
	ds_write_b128 v255, v[48:51] offset:16896
.LBB0_3:
	s_or_b32 exec_lo, exec_lo, s1
	s_clause 0x1
	s_load_dwordx2 s[0:1], s[4:5], 0x20
	s_load_dwordx2 s[2:3], s[4:5], 0x8
	s_waitcnt lgkmcnt(0)
	s_waitcnt_vscnt null, 0x0
	s_barrier
	buffer_gl0_inv
                                        ; implicit-def: $vgpr16_vgpr17
                                        ; implicit-def: $vgpr44_vgpr45
                                        ; implicit-def: $vgpr28_vgpr29
                                        ; implicit-def: $vgpr24_vgpr25
                                        ; implicit-def: $vgpr20_vgpr21
                                        ; implicit-def: $vgpr8_vgpr9
                                        ; implicit-def: $vgpr0_vgpr1
                                        ; implicit-def: $vgpr4_vgpr5
                                        ; implicit-def: $vgpr12_vgpr13
                                        ; implicit-def: $vgpr32_vgpr33
                                        ; implicit-def: $vgpr36_vgpr37
                                        ; implicit-def: $vgpr40_vgpr41
                                        ; implicit-def: $vgpr48_vgpr49
	s_and_saveexec_b32 s4, vcc_lo
	s_cbranch_execz .LBB0_5
; %bb.4:
	ds_read_b128 v[16:19], v255
	ds_read_b128 v[48:51], v255 offset:1408
	ds_read_b128 v[44:47], v255 offset:2816
	;; [unrolled: 1-line block ×12, first 2 shown]
.LBB0_5:
	s_or_b32 exec_lo, exec_lo, s4
	s_waitcnt lgkmcnt(0)
	v_add_f64 v[148:149], v[50:51], -v[2:3]
	s_mov_b32 s4, 0x4267c47c
	s_mov_b32 s5, 0xbfddbe06
	v_add_f64 v[58:59], v[48:49], -v[0:1]
	v_add_f64 v[56:57], v[0:1], v[48:49]
	v_add_f64 v[52:53], v[46:47], -v[6:7]
	s_mov_b32 s6, 0x42a4c3d2
	s_mov_b32 s10, 0xe00740e9
	;; [unrolled: 1-line block ×4, first 2 shown]
	v_add_f64 v[150:151], v[2:3], v[50:51]
	v_add_f64 v[54:55], v[44:45], -v[4:5]
	v_add_f64 v[76:77], v[44:45], v[4:5]
	v_add_f64 v[132:133], v[42:43], -v[10:11]
	s_mov_b32 s8, 0x1ea71119
	s_mov_b32 s20, 0x2ef20147
	;; [unrolled: 1-line block ×6, first 2 shown]
	v_add_f64 v[146:147], v[46:47], v[6:7]
	v_add_f64 v[108:109], v[40:41], -v[8:9]
	v_mul_f64 v[60:61], v[148:149], s[4:5]
	v_mul_f64 v[152:153], v[148:149], s[6:7]
	v_add_f64 v[120:121], v[8:9], v[40:41]
	v_mul_f64 v[62:63], v[58:59], s[4:5]
	v_mul_f64 v[154:155], v[58:59], s[6:7]
	v_mul_f64 v[84:85], v[52:53], s[6:7]
	v_mul_f64 v[130:131], v[52:53], s[20:21]
	v_add_f64 v[80:81], v[38:39], -v[14:15]
	s_mov_b32 s26, 0xb2365da1
	s_mov_b32 s30, 0xebaa3ed8
	;; [unrolled: 1-line block ×3, first 2 shown]
	v_mul_f64 v[116:117], v[54:55], s[6:7]
	v_mul_f64 v[138:139], v[54:55], s[20:21]
	;; [unrolled: 1-line block ×3, first 2 shown]
	s_mov_b32 s31, 0x3fbedb7d
	v_add_f64 v[144:145], v[10:11], v[42:43]
	v_add_f64 v[64:65], v[36:37], -v[12:13]
	v_add_f64 v[88:89], v[30:31], -v[22:23]
	s_mov_b32 s16, 0x24c2f84
	s_mov_b32 s17, 0x3fe5384d
	;; [unrolled: 1-line block ×3, first 2 shown]
	v_mul_f64 v[112:113], v[108:109], s[28:29]
	v_fma_f64 v[66:67], v[56:57], s[10:11], v[60:61]
	v_fma_f64 v[70:71], v[56:57], s[8:9], v[152:153]
	s_mov_b32 s22, s16
	v_fma_f64 v[68:69], v[150:151], s[10:11], -v[62:63]
	v_fma_f64 v[72:73], v[150:151], s[8:9], -v[154:155]
	v_fma_f64 v[74:75], v[76:77], s[8:9], v[84:85]
	v_fma_f64 v[92:93], v[76:77], s[26:27], v[130:131]
	v_mul_f64 v[82:83], v[80:81], s[20:21]
	v_add_f64 v[136:137], v[14:15], v[38:39]
	v_add_f64 v[106:107], v[34:35], -v[26:27]
	s_mov_b32 s34, 0x4bc48dbf
	v_fma_f64 v[90:91], v[146:147], s[8:9], -v[116:117]
	v_fma_f64 v[94:95], v[146:147], s[26:27], -v[138:139]
	v_fma_f64 v[100:101], v[120:121], s[30:31], v[78:79]
	s_mov_b32 s18, 0xd0032e0c
	s_mov_b32 s35, 0xbfcea1e5
	v_mul_f64 v[86:87], v[64:65], s[20:21]
	s_mov_b32 s19, 0xbfe7f3cc
	v_add_f64 v[140:141], v[30:31], v[22:23]
	s_mov_b32 s24, 0x93053d00
	s_mov_b32 s25, 0xbfef11f4
	v_fma_f64 v[102:103], v[144:145], s[30:31], -v[112:113]
	v_add_f64 v[96:97], v[16:17], v[66:67]
	v_add_f64 v[98:99], v[16:17], v[70:71]
	;; [unrolled: 1-line block ×5, first 2 shown]
	v_add_f64 v[66:67], v[28:29], -v[20:21]
	v_mul_f64 v[128:129], v[132:133], s[34:35]
	v_mul_f64 v[134:135], v[108:109], s[34:35]
	;; [unrolled: 1-line block ×4, first 2 shown]
	s_mov_b32 s37, 0x3fefc445
	s_mov_b32 s36, s28
	;; [unrolled: 1-line block ×3, first 2 shown]
	v_mul_f64 v[118:119], v[88:89], s[36:37]
	s_mov_b32 s38, s4
	v_add_f64 v[142:143], v[26:27], v[34:35]
	v_fma_f64 v[156:157], v[136:137], s[26:27], -v[86:87]
	v_add_f64 v[74:75], v[74:75], v[96:97]
	v_add_f64 v[96:97], v[92:93], v[98:99]
	v_mul_f64 v[92:93], v[88:89], s[22:23]
	v_add_f64 v[90:91], v[90:91], v[68:69]
	v_add_f64 v[94:95], v[94:95], v[72:73]
	;; [unrolled: 1-line block ×3, first 2 shown]
	v_fma_f64 v[98:99], v[70:71], s[26:27], v[82:83]
	v_mul_f64 v[110:111], v[66:67], s[22:23]
	v_fma_f64 v[114:115], v[120:121], s[24:25], v[128:129]
	v_fma_f64 v[126:127], v[144:145], s[24:25], -v[134:135]
	v_add_f64 v[68:69], v[32:33], -v[24:25]
	v_mul_f64 v[124:125], v[66:67], s[36:37]
	v_fma_f64 v[158:159], v[70:71], s[18:19], v[104:105]
	v_fma_f64 v[160:161], v[136:137], s[18:19], -v[122:123]
	v_add_f64 v[100:101], v[100:101], v[74:75]
	v_add_f64 v[74:75], v[24:25], v[32:33]
	;; [unrolled: 1-line block ×3, first 2 shown]
	v_mul_f64 v[90:91], v[106:107], s[34:35]
	v_fma_f64 v[164:165], v[72:73], s[18:19], v[92:93]
	v_fma_f64 v[168:169], v[72:73], s[30:31], v[118:119]
	v_fma_f64 v[166:167], v[140:141], s[18:19], -v[110:111]
	v_add_f64 v[96:97], v[114:115], v[96:97]
	v_add_f64 v[162:163], v[126:127], v[94:95]
	v_mul_f64 v[94:95], v[68:69], s[34:35]
	v_mul_f64 v[114:115], v[106:107], s[38:39]
	;; [unrolled: 1-line block ×3, first 2 shown]
	v_fma_f64 v[170:171], v[140:141], s[30:31], -v[124:125]
	v_add_f64 v[98:99], v[98:99], v[100:101]
	v_add_f64 v[100:101], v[156:157], v[102:103]
	v_fma_f64 v[156:157], v[74:75], s[24:25], v[90:91]
	v_add_f64 v[96:97], v[158:159], v[96:97]
	v_add_f64 v[102:103], v[160:161], v[162:163]
	v_fma_f64 v[158:159], v[142:143], s[24:25], -v[94:95]
	v_fma_f64 v[160:161], v[74:75], s[10:11], v[114:115]
	v_fma_f64 v[162:163], v[142:143], s[10:11], -v[126:127]
	v_add_f64 v[98:99], v[164:165], v[98:99]
	v_add_f64 v[164:165], v[166:167], v[100:101]
	;; [unrolled: 1-line block ×5, first 2 shown]
	buffer_load_dword v156, off, s[48:51], 0 ; 4-byte Folded Reload
	v_add_f64 v[102:103], v[158:159], v[164:165]
	v_add_f64 v[96:97], v[160:161], v[96:97]
	;; [unrolled: 1-line block ×3, first 2 shown]
	s_waitcnt vmcnt(0)
	v_mul_lo_u16 v156, v156, 13
	buffer_store_dword v156, off, s[48:51], 0 offset:12 ; 4-byte Folded Spill
	s_waitcnt_vscnt null, 0x0
	s_barrier
	buffer_gl0_inv
	s_and_saveexec_b32 s33, vcc_lo
	s_cbranch_execz .LBB0_7
; %bb.6:
	v_add_f64 v[50:51], v[18:19], v[50:51]
	v_add_f64 v[48:49], v[16:17], v[48:49]
	v_mul_f64 v[156:157], v[150:151], s[24:25]
	s_mov_b32 s41, 0x3fcea1e5
	s_mov_b32 s40, s34
	v_mul_f64 v[166:167], v[148:149], s[34:35]
	v_mul_f64 v[168:169], v[146:147], s[10:11]
	;; [unrolled: 1-line block ×14, first 2 shown]
	s_mov_b32 s43, 0x3fedeba7
	s_mov_b32 s42, s20
	;; [unrolled: 1-line block ×3, first 2 shown]
	v_add_f64 v[46:47], v[46:47], v[50:51]
	v_add_f64 v[44:45], v[44:45], v[48:49]
	v_fma_f64 v[48:49], v[58:59], s[40:41], v[156:157]
	v_mul_f64 v[50:51], v[150:151], s[30:31]
	v_mul_f64 v[150:151], v[52:53], s[38:39]
	v_fma_f64 v[200:201], v[56:57], s[24:25], v[166:167]
	v_fma_f64 v[156:157], v[58:59], s[34:35], v[156:157]
	;; [unrolled: 1-line block ×3, first 2 shown]
	v_fma_f64 v[166:167], v[56:57], s[24:25], -v[166:167]
	v_fma_f64 v[204:205], v[58:59], s[16:17], v[172:173]
	v_fma_f64 v[206:207], v[56:57], s[18:19], v[174:175]
	;; [unrolled: 1-line block ×5, first 2 shown]
	s_mov_b32 s44, s6
	v_mul_f64 v[158:159], v[56:57], s[10:11]
	v_mul_f64 v[162:163], v[56:57], s[8:9]
	;; [unrolled: 1-line block ×5, first 2 shown]
	v_fma_f64 v[220:221], v[54:55], s[28:29], v[186:187]
	v_fma_f64 v[222:223], v[76:77], s[30:31], v[190:191]
	v_add_f64 v[42:43], v[42:43], v[46:47]
	v_add_f64 v[40:41], v[40:41], v[44:45]
	;; [unrolled: 1-line block ×3, first 2 shown]
	v_fma_f64 v[226:227], v[120:121], s[18:19], v[182:183]
	v_fma_f64 v[218:219], v[76:77], s[10:11], v[150:151]
	v_fma_f64 v[150:151], v[76:77], s[10:11], -v[150:151]
	v_add_f64 v[156:157], v[18:19], v[156:157]
	v_fma_f64 v[176:177], v[108:109], s[22:23], v[176:177]
	v_add_f64 v[166:167], v[16:17], v[166:167]
	v_add_f64 v[204:205], v[18:19], v[204:205]
	;; [unrolled: 1-line block ×3, first 2 shown]
	v_fma_f64 v[182:183], v[120:121], s[18:19], -v[182:183]
	v_fma_f64 v[232:233], v[64:65], s[6:7], v[170:171]
	v_mul_f64 v[184:185], v[144:145], s[8:9]
	v_mul_f64 v[194:195], v[140:141], s[26:27]
	;; [unrolled: 1-line block ×5, first 2 shown]
	v_add_f64 v[200:201], v[16:17], v[200:201]
	v_fma_f64 v[230:231], v[120:121], s[8:9], v[188:189]
	v_fma_f64 v[170:171], v[64:65], s[44:45], v[170:171]
	v_mul_f64 v[196:197], v[136:137], s[24:25]
	v_add_f64 v[38:39], v[38:39], v[42:43]
	v_add_f64 v[36:37], v[36:37], v[40:41]
	;; [unrolled: 1-line block ×3, first 2 shown]
	v_fma_f64 v[42:43], v[56:57], s[18:19], -v[174:175]
	v_fma_f64 v[44:45], v[58:59], s[42:43], v[178:179]
	v_fma_f64 v[174:175], v[56:57], s[26:27], v[180:181]
	v_fma_f64 v[178:179], v[58:59], s[20:21], v[178:179]
	v_fma_f64 v[180:181], v[56:57], s[26:27], -v[180:181]
	v_fma_f64 v[202:203], v[58:59], s[36:37], v[50:51]
	v_fma_f64 v[50:51], v[58:59], s[28:29], v[50:51]
	;; [unrolled: 1-line block ×3, first 2 shown]
	v_add_f64 v[156:157], v[168:169], v[156:157]
	v_add_f64 v[150:151], v[150:151], v[166:167]
	v_fma_f64 v[56:57], v[56:57], s[30:31], -v[148:149]
	v_fma_f64 v[148:149], v[76:77], s[30:31], -v[190:191]
	v_add_f64 v[166:167], v[220:221], v[204:205]
	v_add_f64 v[168:169], v[222:223], v[206:207]
	v_fma_f64 v[204:205], v[70:71], s[8:9], -v[214:215]
	v_mul_f64 v[46:47], v[144:145], s[10:11]
	v_mul_f64 v[212:213], v[132:133], s[38:39]
	v_fma_f64 v[228:229], v[108:109], s[44:45], v[184:185]
	v_add_f64 v[200:201], v[218:219], v[200:201]
	v_add_f64 v[30:31], v[30:31], v[38:39]
	;; [unrolled: 1-line block ×4, first 2 shown]
	v_fma_f64 v[38:39], v[54:55], s[36:37], v[186:187]
	v_add_f64 v[40:41], v[18:19], v[172:173]
	v_add_f64 v[42:43], v[16:17], v[42:43]
	;; [unrolled: 1-line block ×3, first 2 shown]
	v_fma_f64 v[164:165], v[54:55], s[22:23], v[192:193]
	v_fma_f64 v[186:187], v[66:67], s[42:43], v[194:195]
	;; [unrolled: 1-line block ×3, first 2 shown]
	v_add_f64 v[44:45], v[18:19], v[44:45]
	v_add_f64 v[156:157], v[176:177], v[156:157]
	;; [unrolled: 1-line block ×4, first 2 shown]
	v_fma_f64 v[160:161], v[76:77], s[18:19], v[48:49]
	v_add_f64 v[174:175], v[16:17], v[174:175]
	v_add_f64 v[168:169], v[230:231], v[168:169]
	v_mul_f64 v[210:211], v[136:137], s[30:31]
	v_fma_f64 v[172:173], v[64:65], s[34:35], v[196:197]
	v_fma_f64 v[190:191], v[70:71], s[8:9], v[214:215]
	v_add_f64 v[166:167], v[228:229], v[166:167]
	v_add_f64 v[200:201], v[226:227], v[200:201]
	;; [unrolled: 1-line block ×5, first 2 shown]
	v_fma_f64 v[34:35], v[108:109], s[6:7], v[184:185]
	v_add_f64 v[36:37], v[38:39], v[40:41]
	v_add_f64 v[38:39], v[162:163], -v[152:153]
	v_fma_f64 v[40:41], v[120:121], s[8:9], -v[188:189]
	v_add_f64 v[42:43], v[148:149], v[42:43]
	v_fma_f64 v[162:163], v[54:55], s[16:17], v[192:193]
	v_add_f64 v[60:61], v[158:159], -v[60:61]
	v_fma_f64 v[158:159], v[108:109], s[4:5], v[46:47]
	v_add_f64 v[156:157], v[170:171], v[156:157]
	v_add_f64 v[150:151], v[204:205], v[150:151]
	v_fma_f64 v[170:171], v[70:71], s[24:25], -v[216:217]
	v_add_f64 v[44:45], v[164:165], v[44:45]
	v_add_f64 v[154:155], v[18:19], v[154:155]
	;; [unrolled: 1-line block ×4, first 2 shown]
	v_fma_f64 v[174:175], v[120:121], s[10:11], v[212:213]
	v_fma_f64 v[46:47], v[108:109], s[38:39], v[46:47]
	v_mul_f64 v[52:53], v[52:53], s[34:35]
	v_fma_f64 v[148:149], v[72:73], s[26:27], v[198:199]
	v_add_f64 v[26:27], v[26:27], v[30:31]
	v_add_f64 v[24:25], v[24:25], v[28:29]
	;; [unrolled: 1-line block ×3, first 2 shown]
	v_fma_f64 v[178:179], v[72:73], s[26:27], -v[198:199]
	v_add_f64 v[28:29], v[186:187], v[32:33]
	v_add_f64 v[32:33], v[34:35], v[36:37]
	v_mul_f64 v[34:35], v[140:141], s[10:11]
	v_add_f64 v[40:41], v[40:41], v[42:43]
	v_mul_f64 v[42:43], v[88:89], s[38:39]
	v_fma_f64 v[36:37], v[64:65], s[40:41], v[196:197]
	v_add_f64 v[164:165], v[190:191], v[200:201]
	v_add_f64 v[166:167], v[172:173], v[166:167]
	;; [unrolled: 1-line block ×8, first 2 shown]
	v_fma_f64 v[62:63], v[64:65], s[36:37], v[210:211]
	v_add_f64 v[44:45], v[158:159], v[44:45]
	v_mul_f64 v[158:159], v[80:81], s[28:29]
	v_add_f64 v[160:161], v[174:175], v[160:161]
	v_add_f64 v[22:23], v[22:23], v[26:27]
	;; [unrolled: 1-line block ×4, first 2 shown]
	v_mul_f64 v[162:163], v[146:147], s[8:9]
	v_mul_f64 v[24:25], v[146:147], s[24:25]
	;; [unrolled: 1-line block ×4, first 2 shown]
	v_add_f64 v[40:41], v[170:171], v[40:41]
	v_fma_f64 v[170:171], v[72:73], s[10:11], v[42:43]
	v_add_f64 v[150:151], v[178:179], v[150:151]
	v_mul_f64 v[178:179], v[144:145], s[24:25]
	v_add_f64 v[32:33], v[36:37], v[32:33]
	v_fma_f64 v[36:37], v[66:67], s[4:5], v[34:35]
	v_fma_f64 v[34:35], v[66:67], s[38:39], v[34:35]
	v_fma_f64 v[42:43], v[72:73], s[10:11], -v[42:43]
	v_mul_f64 v[174:175], v[144:145], s[30:31]
	v_fma_f64 v[48:49], v[76:77], s[18:19], -v[48:49]
	v_mul_f64 v[144:145], v[144:145], s[26:27]
	v_mul_f64 v[132:133], v[132:133], s[42:43]
	v_fma_f64 v[184:185], v[76:77], s[24:25], v[52:53]
	v_fma_f64 v[52:53], v[76:77], s[24:25], -v[52:53]
	v_fma_f64 v[152:153], v[66:67], s[20:21], v[194:195]
	v_add_f64 v[58:59], v[16:17], v[58:59]
	v_add_f64 v[16:17], v[16:17], v[60:61]
	;; [unrolled: 1-line block ×3, first 2 shown]
	v_mul_f64 v[46:47], v[120:121], s[24:25]
	v_mul_f64 v[60:61], v[140:141], s[24:25]
	v_add_f64 v[138:139], v[138:139], v[146:147]
	v_add_f64 v[26:27], v[26:27], -v[130:131]
	v_add_f64 v[148:149], v[148:149], v[164:165]
	v_add_f64 v[168:169], v[170:171], v[168:169]
	v_fma_f64 v[170:171], v[54:55], s[40:41], v[24:25]
	v_fma_f64 v[24:25], v[54:55], s[34:35], v[24:25]
	v_mul_f64 v[54:55], v[136:137], s[18:19]
	v_add_f64 v[134:135], v[134:135], v[178:179]
	v_mul_f64 v[164:165], v[120:121], s[30:31]
	v_add_f64 v[44:45], v[62:63], v[44:45]
	v_fma_f64 v[62:63], v[70:71], s[30:31], v[158:159]
	v_fma_f64 v[180:181], v[64:65], s[28:29], v[210:211]
	v_add_f64 v[32:33], v[34:35], v[32:33]
	v_mul_f64 v[34:35], v[136:137], s[26:27]
	v_add_f64 v[40:41], v[42:43], v[40:41]
	v_mul_f64 v[42:43], v[70:71], s[18:19]
	v_mul_f64 v[146:147], v[140:141], s[30:31]
	v_add_f64 v[48:49], v[48:49], v[172:173]
	v_fma_f64 v[182:183], v[120:121], s[10:11], -v[212:213]
	v_mul_f64 v[136:137], v[136:137], s[10:11]
	v_add_f64 v[46:47], v[46:47], -v[128:129]
	v_add_f64 v[52:53], v[52:53], v[56:57]
	v_add_f64 v[138:139], v[138:139], v[154:155]
	;; [unrolled: 1-line block ×4, first 2 shown]
	v_fma_f64 v[156:157], v[66:67], s[34:35], v[60:61]
	v_add_f64 v[170:171], v[170:171], v[176:177]
	v_fma_f64 v[176:177], v[108:109], s[20:21], v[144:145]
	v_add_f64 v[24:25], v[24:25], v[50:51]
	v_fma_f64 v[50:51], v[120:121], s[26:27], v[132:133]
	v_fma_f64 v[120:121], v[120:121], s[26:27], -v[132:133]
	v_add_f64 v[54:55], v[122:123], v[54:55]
	v_add_f64 v[62:63], v[62:63], v[160:161]
	v_mul_f64 v[160:161], v[140:141], s[18:19]
	v_add_f64 v[30:31], v[180:181], v[30:31]
	v_mul_f64 v[178:179], v[142:143], s[8:9]
	v_mul_f64 v[38:39], v[142:143], s[10:11]
	v_fma_f64 v[60:61], v[66:67], s[40:41], v[60:61]
	v_fma_f64 v[158:159], v[70:71], s[30:31], -v[158:159]
	v_mul_f64 v[140:141], v[140:141], s[8:9]
	v_add_f64 v[42:43], v[42:43], -v[104:105]
	v_fma_f64 v[122:123], v[64:65], s[38:39], v[136:137]
	v_add_f64 v[34:35], v[86:87], v[34:35]
	v_add_f64 v[14:15], v[14:15], v[22:23]
	;; [unrolled: 1-line block ×8, first 2 shown]
	v_mul_f64 v[208:209], v[76:77], s[8:9]
	v_add_f64 v[116:117], v[116:117], v[162:163]
	v_add_f64 v[22:23], v[120:121], v[52:53]
	v_fma_f64 v[52:53], v[64:65], s[4:5], v[136:137]
	v_add_f64 v[64:65], v[176:177], v[170:171]
	v_add_f64 v[36:37], v[36:37], v[166:167]
	v_mul_f64 v[166:167], v[70:71], s[26:27]
	v_fma_f64 v[56:57], v[68:69], s[6:7], v[178:179]
	v_add_f64 v[38:39], v[126:127], v[38:39]
	v_fma_f64 v[108:109], v[108:109], s[42:43], v[144:145]
	v_add_f64 v[112:113], v[112:113], v[174:175]
	v_add_f64 v[78:79], v[164:165], -v[78:79]
	v_mul_f64 v[80:81], v[80:81], s[38:39]
	v_add_f64 v[58:59], v[184:185], v[58:59]
	v_mul_f64 v[156:157], v[72:73], s[18:19]
	v_add_f64 v[10:11], v[10:11], v[14:15]
	v_add_f64 v[54:55], v[54:55], v[134:135]
	v_mul_f64 v[180:181], v[72:73], s[30:31]
	v_add_f64 v[14:15], v[42:43], v[20:21]
	v_add_f64 v[20:21], v[158:159], v[26:27]
	;; [unrolled: 1-line block ×3, first 2 shown]
	v_fma_f64 v[30:31], v[66:67], s[44:45], v[140:141]
	v_add_f64 v[84:85], v[208:209], -v[84:85]
	v_add_f64 v[18:19], v[116:117], v[18:19]
	v_mul_f64 v[128:129], v[88:89], s[40:41]
	v_mul_f64 v[88:89], v[88:89], s[6:7]
	v_add_f64 v[42:43], v[52:53], v[64:65]
	v_add_f64 v[8:9], v[8:9], v[12:13]
	v_add_f64 v[82:83], v[166:167], -v[82:83]
	v_mul_f64 v[172:173], v[74:75], s[24:25]
	v_mul_f64 v[144:145], v[106:107], s[36:37]
	v_add_f64 v[24:25], v[108:109], v[24:25]
	v_mul_f64 v[162:163], v[142:143], s[26:27]
	v_mul_f64 v[132:133], v[106:107], s[20:21]
	v_fma_f64 v[138:139], v[70:71], s[10:11], -v[80:81]
	v_fma_f64 v[70:71], v[70:71], s[10:11], v[80:81]
	v_add_f64 v[50:51], v[50:51], v[58:59]
	v_mul_f64 v[76:77], v[142:143], s[24:25]
	v_add_f64 v[54:55], v[86:87], v[54:55]
	v_mul_f64 v[184:185], v[106:107], s[44:45]
	v_mul_f64 v[58:59], v[106:107], s[22:23]
	v_add_f64 v[106:107], v[110:111], v[160:161]
	v_mul_f64 v[130:131], v[142:143], s[30:31]
	v_mul_f64 v[154:155], v[74:75], s[10:11]
	v_add_f64 v[16:17], v[84:85], v[16:17]
	v_add_f64 v[18:19], v[112:113], v[18:19]
	v_add_f64 v[104:105], v[180:181], -v[118:119]
	v_mul_f64 v[48:49], v[142:143], s[18:19]
	v_add_f64 v[42:43], v[30:31], v[42:43]
	v_fma_f64 v[80:81], v[72:73], s[8:9], -v[88:89]
	v_fma_f64 v[46:47], v[72:73], s[24:25], -v[128:129]
	v_fma_f64 v[108:109], v[72:73], s[24:25], v[128:129]
	v_fma_f64 v[52:53], v[72:73], s[8:9], v[88:89]
	v_add_f64 v[24:25], v[122:123], v[24:25]
	v_add_f64 v[86:87], v[4:5], v[8:9]
	v_fma_f64 v[164:165], v[68:69], s[42:43], v[162:163]
	v_fma_f64 v[162:163], v[68:69], s[20:21], v[162:163]
	;; [unrolled: 1-line block ×3, first 2 shown]
	v_add_f64 v[50:51], v[70:71], v[50:51]
	v_add_f64 v[72:73], v[94:95], v[76:77]
	;; [unrolled: 1-line block ×4, first 2 shown]
	buffer_load_dword v45, off, s[48:51], 0 offset:12 ; 4-byte Folded Reload
	v_fma_f64 v[60:61], v[74:75], s[8:9], -v[184:185]
	v_fma_f64 v[174:175], v[68:69], s[28:29], v[130:131]
	v_add_f64 v[70:71], v[154:155], -v[114:115]
	v_add_f64 v[16:17], v[78:79], v[16:17]
	v_fma_f64 v[78:79], v[66:67], s[6:7], v[140:141]
	v_add_f64 v[18:19], v[34:35], v[18:19]
	v_add_f64 v[34:35], v[156:157], -v[92:93]
	v_add_f64 v[88:89], v[104:105], v[14:15]
	v_fma_f64 v[64:65], v[68:69], s[22:23], v[48:49]
	v_fma_f64 v[66:67], v[74:75], s[18:19], -v[58:59]
	v_add_f64 v[20:21], v[46:47], v[20:21]
	v_fma_f64 v[132:133], v[74:75], s[26:27], -v[132:133]
	v_fma_f64 v[116:117], v[74:75], s[30:31], v[144:145]
	v_fma_f64 v[130:131], v[68:69], s[36:37], v[130:131]
	v_fma_f64 v[144:145], v[74:75], s[30:31], -v[144:145]
	v_fma_f64 v[46:47], v[74:75], s[8:9], v[184:185]
	v_add_f64 v[62:63], v[108:109], v[62:63]
	v_fma_f64 v[48:49], v[68:69], s[16:17], v[48:49]
	v_fma_f64 v[58:59], v[74:75], s[18:19], v[58:59]
	v_add_f64 v[50:51], v[52:53], v[50:51]
	v_add_f64 v[0:1], v[0:1], v[86:87]
	;; [unrolled: 1-line block ×3, first 2 shown]
	v_mov_b32_e32 v44, 4
	v_add_f64 v[12:13], v[82:83], v[16:17]
	v_add_f64 v[16:17], v[138:139], v[22:23]
	;; [unrolled: 1-line block ×5, first 2 shown]
	v_add_f64 v[78:79], v[172:173], -v[90:91]
	v_fma_f64 v[22:23], v[68:69], s[44:45], v[178:179]
	v_add_f64 v[18:19], v[162:163], v[32:33]
	v_add_f64 v[6:7], v[174:175], v[28:29]
	;; [unrolled: 1-line block ×20, first 2 shown]
	s_waitcnt vmcnt(0)
	v_lshlrev_b32_sdwa v44, v44, v45 dst_sel:DWORD dst_unused:UNUSED_PAD src0_sel:DWORD src1_sel:WORD_0
	ds_write_b128 v44, v[0:3]
	ds_write_b128 v44, v[32:35] offset:16
	ds_write_b128 v44, v[28:31] offset:32
	ds_write_b128 v44, v[24:27] offset:48
	ds_write_b128 v44, v[20:23] offset:64
	ds_write_b128 v44, v[16:19] offset:80
	ds_write_b128 v44, v[8:11] offset:96
	ds_write_b128 v44, v[4:7] offset:112
	ds_write_b128 v44, v[12:15] offset:128
	ds_write_b128 v44, v[36:39] offset:144
	ds_write_b128 v44, v[40:43] offset:160
	ds_write_b128 v44, v[96:99] offset:176
	ds_write_b128 v44, v[100:103] offset:192
.LBB0_7:
	s_or_b32 exec_lo, exec_lo, s33
	buffer_load_dword v180, off, s[48:51], 0 ; 4-byte Folded Reload
	s_load_dwordx4 s[4:7], s[0:1], 0x0
	s_waitcnt vmcnt(0) lgkmcnt(0)
	s_barrier
	buffer_gl0_inv
	s_mov_b32 s26, 0xf8bb580b
	s_mov_b32 s18, 0x43842ef
	;; [unrolled: 1-line block ×26, first 2 shown]
	v_and_b32_e32 v0, 0xff, v180
	v_mul_lo_u16 v0, 0x4f, v0
	v_lshrrev_b16 v142, 10, v0
	v_mul_lo_u16 v0, v142, 13
	v_sub_nc_u16 v0, v180, v0
	v_and_b32_e32 v143, 0xff, v0
	v_mul_u32_u24_e32 v0, 10, v143
	v_lshlrev_b32_e32 v74, 4, v0
	s_clause 0x7
	global_load_dwordx4 v[28:31], v74, s[2:3]
	global_load_dwordx4 v[16:19], v74, s[2:3] offset:16
	global_load_dwordx4 v[4:7], v74, s[2:3] offset:32
	;; [unrolled: 1-line block ×7, first 2 shown]
	ds_read_b128 v[32:35], v255 offset:1664
	ds_read_b128 v[36:39], v255 offset:3328
	;; [unrolled: 1-line block ×3, first 2 shown]
	ds_read_b128 v[80:83], v255
	ds_read_b128 v[48:51], v255 offset:6656
	ds_read_b128 v[52:55], v255 offset:8320
	s_waitcnt vmcnt(7) lgkmcnt(5)
	v_mul_f64 v[40:41], v[34:35], v[30:31]
	v_mul_f64 v[42:43], v[32:33], v[30:31]
	s_waitcnt vmcnt(6) lgkmcnt(4)
	v_mul_f64 v[56:57], v[38:39], v[18:19]
	v_mul_f64 v[58:59], v[36:37], v[18:19]
	;; [unrolled: 3-line block ×4, first 2 shown]
	v_mul_f64 v[66:67], v[48:49], v[2:3]
	v_fma_f64 v[78:79], v[32:33], v[28:29], -v[40:41]
	v_fma_f64 v[84:85], v[34:35], v[28:29], v[42:43]
	ds_read_b128 v[32:35], v255 offset:9984
	v_fma_f64 v[40:41], v[36:37], v[16:17], -v[56:57]
	v_fma_f64 v[42:43], v[38:39], v[16:17], v[58:59]
	ds_read_b128 v[36:39], v255 offset:11648
	v_mul_f64 v[56:57], v[52:53], v[14:15]
	v_fma_f64 v[44:45], v[44:45], v[4:5], -v[60:61]
	v_fma_f64 v[46:47], v[46:47], v[4:5], v[62:63]
	v_fma_f64 v[48:49], v[48:49], v[0:1], -v[64:65]
	v_fma_f64 v[50:51], v[50:51], v[0:1], v[66:67]
	v_fma_f64 v[52:53], v[52:53], v[12:13], -v[68:69]
	s_waitcnt vmcnt(2) lgkmcnt(1)
	v_mul_f64 v[58:59], v[34:35], v[10:11]
	v_mul_f64 v[60:61], v[32:33], v[10:11]
	s_waitcnt vmcnt(1) lgkmcnt(0)
	v_mul_f64 v[62:63], v[38:39], v[22:23]
	v_fma_f64 v[54:55], v[54:55], v[12:13], v[56:57]
	v_fma_f64 v[56:57], v[32:33], v[8:9], -v[58:59]
	v_mul_f64 v[32:33], v[36:37], v[22:23]
	v_fma_f64 v[58:59], v[34:35], v[8:9], v[60:61]
	v_fma_f64 v[60:61], v[36:37], v[20:21], -v[62:63]
	v_add_f64 v[174:175], v[52:53], -v[56:57]
	v_fma_f64 v[62:63], v[38:39], v[20:21], v[32:33]
	ds_read_b128 v[32:35], v255 offset:13312
	ds_read_b128 v[70:73], v255 offset:14976
	v_add_f64 v[156:157], v[48:49], v[60:61]
	v_add_f64 v[168:169], v[54:55], -v[58:59]
	v_add_f64 v[170:171], v[52:53], v[56:57]
	v_add_f64 v[176:177], v[54:55], v[58:59]
	s_waitcnt vmcnt(0) lgkmcnt(1)
	v_mul_f64 v[36:37], v[34:35], v[26:27]
	v_mul_f64 v[178:179], v[174:175], s[28:29]
	v_add_f64 v[162:163], v[50:51], v[62:63]
	v_mul_f64 v[172:173], v[168:169], s[28:29]
	v_fma_f64 v[64:65], v[32:33], v[24:25], -v[36:37]
	v_mul_f64 v[32:33], v[32:33], v[26:27]
	v_fma_f64 v[66:67], v[34:35], v[24:25], v[32:33]
	s_clause 0x1
	global_load_dwordx4 v[32:35], v74, s[2:3] offset:128
	global_load_dwordx4 v[36:39], v74, s[2:3] offset:144
	ds_read_b128 v[74:77], v255 offset:16640
	s_waitcnt vmcnt(0) lgkmcnt(0)
	s_barrier
	buffer_gl0_inv
	v_mul_f64 v[68:69], v[72:73], v[34:35]
	v_fma_f64 v[68:69], v[70:71], v[32:33], -v[68:69]
	v_mul_f64 v[70:71], v[70:71], v[34:35]
	v_fma_f64 v[70:71], v[72:73], v[32:33], v[70:71]
	v_mul_f64 v[72:73], v[74:75], v[38:39]
	v_fma_f64 v[72:73], v[76:77], v[36:37], v[72:73]
	v_mul_f64 v[76:77], v[76:77], v[38:39]
	v_add_f64 v[120:121], v[84:85], v[72:73]
	v_fma_f64 v[74:75], v[74:75], v[36:37], -v[76:77]
	v_add_f64 v[76:77], v[84:85], -v[72:73]
	v_add_f64 v[94:95], v[78:79], v[74:75]
	v_mul_f64 v[86:87], v[76:77], s[26:27]
	v_mul_f64 v[88:89], v[76:77], s[20:21]
	v_mul_f64 v[90:91], v[76:77], s[18:19]
	v_mul_f64 v[92:93], v[76:77], s[22:23]
	v_mul_f64 v[76:77], v[76:77], s[28:29]
	v_fma_f64 v[104:105], v[94:95], s[10:11], -v[86:87]
	v_fma_f64 v[86:87], v[94:95], s[10:11], v[86:87]
	v_fma_f64 v[106:107], v[94:95], s[8:9], -v[88:89]
	v_fma_f64 v[88:89], v[94:95], s[8:9], v[88:89]
	;; [unrolled: 2-line block ×5, first 2 shown]
	v_add_f64 v[76:77], v[78:79], -v[74:75]
	v_add_f64 v[148:149], v[80:81], v[104:105]
	v_add_f64 v[134:135], v[80:81], v[106:107]
	;; [unrolled: 1-line block ×4, first 2 shown]
	v_mul_f64 v[108:109], v[76:77], s[26:27]
	v_mul_f64 v[114:115], v[76:77], s[22:23]
	;; [unrolled: 1-line block ×5, first 2 shown]
	v_fma_f64 v[122:123], v[120:121], s[10:11], v[108:109]
	v_fma_f64 v[138:139], v[120:121], s[16:17], v[114:115]
	v_fma_f64 v[108:109], v[120:121], s[10:11], -v[108:109]
	v_fma_f64 v[124:125], v[120:121], s[8:9], v[110:111]
	v_fma_f64 v[126:127], v[120:121], s[8:9], -v[110:111]
	;; [unrolled: 2-line block ×3, first 2 shown]
	v_fma_f64 v[140:141], v[120:121], s[16:17], -v[114:115]
	v_fma_f64 v[144:145], v[120:121], s[24:25], v[76:77]
	v_fma_f64 v[146:147], v[120:121], s[24:25], -v[76:77]
	v_add_f64 v[76:77], v[80:81], v[78:79]
	v_add_f64 v[78:79], v[82:83], v[84:85]
	;; [unrolled: 1-line block ×8, first 2 shown]
	v_add_f64 v[92:93], v[42:43], -v[70:71]
	v_add_f64 v[120:121], v[82:83], v[138:139]
	v_add_f64 v[112:113], v[82:83], v[126:127]
	v_add_f64 v[126:127], v[80:81], v[116:117]
	v_add_f64 v[80:81], v[80:81], v[94:95]
	v_add_f64 v[94:95], v[40:41], -v[68:69]
	v_add_f64 v[132:133], v[82:83], v[124:125]
	v_add_f64 v[124:125], v[82:83], v[130:131]
	v_add_f64 v[116:117], v[82:83], v[140:141]
	v_add_f64 v[104:105], v[82:83], v[136:137]
	;; [unrolled: 5-line block ×3, first 2 shown]
	v_mul_f64 v[138:139], v[92:93], s[20:21]
	v_mul_f64 v[140:141], v[94:95], s[20:21]
	s_mov_b32 s21, 0x3fed1bb4
	v_add_f64 v[40:41], v[40:41], v[44:45]
	v_fma_f64 v[86:87], v[84:85], s[8:9], -v[138:139]
	v_fma_f64 v[138:139], v[84:85], s[8:9], v[138:139]
	v_add_f64 v[40:41], v[40:41], v[48:49]
	v_add_f64 v[130:131], v[86:87], v[148:149]
	;; [unrolled: 1-line block ×3, first 2 shown]
	v_mul_f64 v[148:149], v[136:137], s[18:19]
	v_add_f64 v[110:111], v[138:139], v[110:111]
	v_add_f64 v[42:43], v[78:79], v[42:43]
	;; [unrolled: 1-line block ×3, first 2 shown]
	v_fma_f64 v[128:129], v[86:87], s[8:9], v[140:141]
	v_fma_f64 v[138:139], v[86:87], s[8:9], -v[140:141]
	v_fma_f64 v[140:141], v[176:177], s[24:25], -v[178:179]
	v_add_f64 v[42:43], v[42:43], v[46:47]
	v_add_f64 v[40:41], v[40:41], v[56:57]
	;; [unrolled: 1-line block ×4, first 2 shown]
	v_add_f64 v[150:151], v[44:45], -v[64:65]
	v_add_f64 v[108:109], v[138:139], v[108:109]
	v_add_f64 v[42:43], v[42:43], v[50:51]
	v_mov_b32_e32 v44, 0x8f
	v_mul_u32_u24_sdwa v44, v142, v44 dst_sel:DWORD dst_unused:UNUSED_PAD src0_sel:WORD_0 src1_sel:DWORD
	v_add_f64 v[40:41], v[40:41], v[60:61]
	v_fma_f64 v[146:147], v[128:129], s[0:1], -v[148:149]
	v_mul_f64 v[152:153], v[150:151], s[18:19]
	v_fma_f64 v[138:139], v[128:129], s[0:1], v[148:149]
	v_add_f64 v[42:43], v[42:43], v[54:55]
	v_add_f64 v[40:41], v[40:41], v[64:65]
	;; [unrolled: 1-line block ×7, first 2 shown]
	v_fma_f64 v[154:155], v[130:131], s[0:1], v[152:153]
	v_fma_f64 v[138:139], v[130:131], s[0:1], -v[152:153]
	v_add_f64 v[42:43], v[42:43], v[62:63]
	v_add_f64 v[40:41], v[40:41], v[74:75]
	;; [unrolled: 1-line block ×3, first 2 shown]
	v_add_f64 v[154:155], v[50:51], -v[62:63]
	v_add_f64 v[108:109], v[138:139], v[108:109]
	v_add_f64 v[42:43], v[42:43], v[66:67]
	v_mul_f64 v[158:159], v[154:155], s[22:23]
	v_add_f64 v[42:43], v[42:43], v[70:71]
	v_fma_f64 v[160:161], v[156:157], s[16:17], -v[158:159]
	v_fma_f64 v[138:139], v[156:157], s[16:17], v[158:159]
	v_add_f64 v[42:43], v[42:43], v[72:73]
	v_add_f64 v[146:147], v[160:161], v[146:147]
	v_add_f64 v[160:161], v[48:49], -v[60:61]
	v_add_f64 v[110:111], v[138:139], v[110:111]
	v_mul_f64 v[164:165], v[160:161], s[22:23]
	v_fma_f64 v[138:139], v[162:163], s[16:17], -v[164:165]
	v_fma_f64 v[166:167], v[162:163], s[16:17], v[164:165]
	v_add_f64 v[138:139], v[138:139], v[108:109]
	v_fma_f64 v[108:109], v[170:171], s[24:25], v[172:173]
	v_add_f64 v[166:167], v[166:167], v[144:145]
	v_fma_f64 v[144:145], v[170:171], s[24:25], -v[172:173]
	v_mul_f64 v[172:173], v[168:169], s[30:31]
	v_add_f64 v[108:109], v[108:109], v[110:111]
	v_add_f64 v[110:111], v[140:141], v[138:139]
	v_mul_f64 v[138:139], v[92:93], s[22:23]
	v_add_f64 v[144:145], v[144:145], v[146:147]
	v_fma_f64 v[146:147], v[176:177], s[24:25], v[178:179]
	v_mul_f64 v[178:179], v[174:175], s[30:31]
	v_fma_f64 v[140:141], v[84:85], s[16:17], -v[138:139]
	v_fma_f64 v[138:139], v[84:85], s[16:17], v[138:139]
	v_add_f64 v[146:147], v[146:147], v[166:167]
	v_add_f64 v[134:135], v[140:141], v[134:135]
	v_mul_f64 v[140:141], v[94:95], s[22:23]
	v_add_f64 v[114:115], v[138:139], v[114:115]
	v_fma_f64 v[148:149], v[86:87], s[16:17], v[140:141]
	v_fma_f64 v[138:139], v[86:87], s[16:17], -v[140:141]
	v_fma_f64 v[140:141], v[176:177], s[10:11], -v[178:179]
	v_add_f64 v[132:133], v[148:149], v[132:133]
	v_mul_f64 v[148:149], v[136:137], s[36:37]
	v_add_f64 v[112:113], v[138:139], v[112:113]
	v_fma_f64 v[152:153], v[128:129], s[24:25], -v[148:149]
	v_fma_f64 v[138:139], v[128:129], s[24:25], v[148:149]
	v_add_f64 v[134:135], v[152:153], v[134:135]
	v_mul_f64 v[152:153], v[150:151], s[36:37]
	v_add_f64 v[114:115], v[138:139], v[114:115]
	v_fma_f64 v[158:159], v[130:131], s[24:25], v[152:153]
	v_fma_f64 v[138:139], v[130:131], s[24:25], -v[152:153]
	v_add_f64 v[132:133], v[158:159], v[132:133]
	v_mul_f64 v[158:159], v[154:155], s[34:35]
	v_add_f64 v[112:113], v[138:139], v[112:113]
	v_fma_f64 v[164:165], v[156:157], s[0:1], -v[158:159]
	v_fma_f64 v[138:139], v[156:157], s[0:1], v[158:159]
	v_add_f64 v[134:135], v[164:165], v[134:135]
	v_mul_f64 v[164:165], v[160:161], s[34:35]
	v_add_f64 v[114:115], v[138:139], v[114:115]
	v_fma_f64 v[138:139], v[162:163], s[0:1], -v[164:165]
	v_fma_f64 v[166:167], v[162:163], s[0:1], v[164:165]
	v_add_f64 v[138:139], v[138:139], v[112:113]
	v_fma_f64 v[112:113], v[170:171], s[10:11], v[172:173]
	v_add_f64 v[166:167], v[166:167], v[132:133]
	v_fma_f64 v[132:133], v[170:171], s[10:11], -v[172:173]
	v_mul_f64 v[172:173], v[168:169], s[22:23]
	v_add_f64 v[112:113], v[112:113], v[114:115]
	v_add_f64 v[114:115], v[140:141], v[138:139]
	v_mul_f64 v[138:139], v[92:93], s[36:37]
	v_add_f64 v[132:133], v[132:133], v[134:135]
	v_fma_f64 v[134:135], v[176:177], s[10:11], v[178:179]
	v_mul_f64 v[178:179], v[174:175], s[22:23]
	v_fma_f64 v[140:141], v[84:85], s[24:25], -v[138:139]
	v_fma_f64 v[138:139], v[84:85], s[24:25], v[138:139]
	v_add_f64 v[134:135], v[134:135], v[166:167]
	v_add_f64 v[126:127], v[140:141], v[126:127]
	v_mul_f64 v[140:141], v[94:95], s[36:37]
	v_add_f64 v[106:107], v[138:139], v[106:107]
	v_fma_f64 v[148:149], v[86:87], s[24:25], v[140:141]
	v_fma_f64 v[138:139], v[86:87], s[24:25], -v[140:141]
	v_fma_f64 v[140:141], v[176:177], s[16:17], -v[178:179]
	v_add_f64 v[124:125], v[148:149], v[124:125]
	v_mul_f64 v[148:149], v[136:137], s[20:21]
	v_add_f64 v[104:105], v[138:139], v[104:105]
	v_fma_f64 v[152:153], v[128:129], s[8:9], -v[148:149]
	v_fma_f64 v[138:139], v[128:129], s[8:9], v[148:149]
	v_add_f64 v[126:127], v[152:153], v[126:127]
	v_mul_f64 v[152:153], v[150:151], s[20:21]
	v_add_f64 v[106:107], v[138:139], v[106:107]
	v_fma_f64 v[158:159], v[130:131], s[8:9], v[152:153]
	v_fma_f64 v[138:139], v[130:131], s[8:9], -v[152:153]
	v_add_f64 v[124:125], v[158:159], v[124:125]
	v_mul_f64 v[158:159], v[154:155], s[26:27]
	v_add_f64 v[104:105], v[138:139], v[104:105]
	v_fma_f64 v[164:165], v[156:157], s[10:11], -v[158:159]
	v_fma_f64 v[138:139], v[156:157], s[10:11], v[158:159]
	v_add_f64 v[126:127], v[164:165], v[126:127]
	v_mul_f64 v[164:165], v[160:161], s[26:27]
	v_add_f64 v[106:107], v[138:139], v[106:107]
	v_fma_f64 v[138:139], v[162:163], s[10:11], -v[164:165]
	v_fma_f64 v[166:167], v[162:163], s[10:11], v[164:165]
	v_add_f64 v[138:139], v[138:139], v[104:105]
	v_fma_f64 v[104:105], v[170:171], s[16:17], v[172:173]
	v_add_f64 v[166:167], v[166:167], v[124:125]
	v_fma_f64 v[124:125], v[170:171], s[16:17], -v[172:173]
	v_mul_f64 v[172:173], v[168:169], s[20:21]
	v_add_f64 v[104:105], v[104:105], v[106:107]
	v_add_f64 v[106:107], v[140:141], v[138:139]
	v_mul_f64 v[138:139], v[92:93], s[34:35]
	v_add_f64 v[124:125], v[124:125], v[126:127]
	v_fma_f64 v[126:127], v[176:177], s[16:17], v[178:179]
	v_mul_f64 v[178:179], v[174:175], s[20:21]
	v_mul_f64 v[92:93], v[92:93], s[30:31]
	v_fma_f64 v[140:141], v[84:85], s[0:1], -v[138:139]
	v_fma_f64 v[138:139], v[84:85], s[0:1], v[138:139]
	v_add_f64 v[126:127], v[126:127], v[166:167]
	v_add_f64 v[122:123], v[140:141], v[122:123]
	v_mul_f64 v[140:141], v[94:95], s[34:35]
	v_add_f64 v[118:119], v[138:139], v[118:119]
	v_mul_f64 v[94:95], v[94:95], s[30:31]
	v_fma_f64 v[148:149], v[86:87], s[0:1], v[140:141]
	v_fma_f64 v[138:139], v[86:87], s[0:1], -v[140:141]
	v_fma_f64 v[140:141], v[176:177], s[8:9], -v[178:179]
	v_add_f64 v[120:121], v[148:149], v[120:121]
	v_mul_f64 v[148:149], v[136:137], s[26:27]
	v_add_f64 v[116:117], v[138:139], v[116:117]
	v_mul_f64 v[136:137], v[136:137], s[22:23]
	v_fma_f64 v[152:153], v[128:129], s[10:11], -v[148:149]
	v_fma_f64 v[138:139], v[128:129], s[10:11], v[148:149]
	v_add_f64 v[122:123], v[152:153], v[122:123]
	v_mul_f64 v[152:153], v[150:151], s[26:27]
	v_add_f64 v[118:119], v[138:139], v[118:119]
	v_fma_f64 v[158:159], v[130:131], s[10:11], v[152:153]
	v_fma_f64 v[138:139], v[130:131], s[10:11], -v[152:153]
	v_mul_f64 v[152:153], v[168:169], s[18:19]
	v_add_lshl_u32 v168, v44, v143, 4
	ds_write_b128 v168, v[144:147] offset:208
	ds_write_b128 v168, v[132:135] offset:416
	;; [unrolled: 1-line block ×3, first 2 shown]
	v_add_f64 v[120:121], v[158:159], v[120:121]
	v_mul_f64 v[158:159], v[154:155], s[28:29]
	v_add_f64 v[116:117], v[138:139], v[116:117]
	v_fma_f64 v[164:165], v[156:157], s[24:25], -v[158:159]
	v_fma_f64 v[138:139], v[156:157], s[24:25], v[158:159]
	v_add_f64 v[122:123], v[164:165], v[122:123]
	v_mul_f64 v[164:165], v[160:161], s[28:29]
	v_add_f64 v[118:119], v[138:139], v[118:119]
	v_fma_f64 v[138:139], v[162:163], s[24:25], -v[164:165]
	v_fma_f64 v[166:167], v[162:163], s[24:25], v[164:165]
	v_add_f64 v[138:139], v[138:139], v[116:117]
	v_fma_f64 v[116:117], v[170:171], s[8:9], v[172:173]
	v_add_f64 v[166:167], v[166:167], v[120:121]
	v_fma_f64 v[120:121], v[170:171], s[8:9], -v[172:173]
	v_add_f64 v[116:117], v[116:117], v[118:119]
	v_add_f64 v[118:119], v[140:141], v[138:139]
	v_fma_f64 v[138:139], v[84:85], s[10:11], -v[92:93]
	v_fma_f64 v[84:85], v[84:85], s[10:11], v[92:93]
	v_fma_f64 v[92:93], v[128:129], s[16:17], v[136:137]
	v_add_f64 v[120:121], v[120:121], v[122:123]
	v_fma_f64 v[122:123], v[176:177], s[8:9], v[178:179]
	v_add_f64 v[90:91], v[138:139], v[90:91]
	v_fma_f64 v[138:139], v[86:87], s[10:11], v[94:95]
	v_fma_f64 v[86:87], v[86:87], s[10:11], -v[94:95]
	v_add_f64 v[80:81], v[84:85], v[80:81]
	v_add_f64 v[122:123], v[122:123], v[166:167]
	;; [unrolled: 1-line block ×3, first 2 shown]
	v_fma_f64 v[138:139], v[128:129], s[16:17], -v[136:137]
	v_add_f64 v[82:83], v[86:87], v[82:83]
	v_add_f64 v[80:81], v[92:93], v[80:81]
	v_fma_f64 v[92:93], v[170:171], s[0:1], v[152:153]
	v_add_f64 v[90:91], v[138:139], v[90:91]
	v_mul_f64 v[138:139], v[150:151], s[22:23]
	v_fma_f64 v[140:141], v[130:131], s[16:17], v[138:139]
	v_fma_f64 v[94:95], v[130:131], s[16:17], -v[138:139]
	v_add_f64 v[88:89], v[140:141], v[88:89]
	v_mul_f64 v[140:141], v[154:155], s[20:21]
	v_mul_f64 v[154:155], v[174:175], s[18:19]
	v_add_f64 v[82:83], v[94:95], v[82:83]
	v_fma_f64 v[148:149], v[156:157], s[8:9], -v[140:141]
	v_fma_f64 v[84:85], v[156:157], s[8:9], v[140:141]
	v_fma_f64 v[94:95], v[176:177], s[0:1], -v[154:155]
                                        ; implicit-def: $vgpr156_vgpr157
	v_add_f64 v[90:91], v[148:149], v[90:91]
	v_mul_f64 v[148:149], v[160:161], s[20:21]
	v_add_f64 v[80:81], v[84:85], v[80:81]
	v_fma_f64 v[150:151], v[162:163], s[8:9], v[148:149]
	v_fma_f64 v[86:87], v[162:163], s[8:9], -v[148:149]
	v_add_f64 v[80:81], v[92:93], v[80:81]
                                        ; implicit-def: $vgpr148_vgpr149
	v_add_f64 v[150:151], v[150:151], v[88:89]
	v_fma_f64 v[88:89], v[170:171], s[0:1], -v[152:153]
	v_add_f64 v[82:83], v[86:87], v[82:83]
                                        ; implicit-def: $vgpr152_vgpr153
	v_add_f64 v[88:89], v[88:89], v[90:91]
	v_fma_f64 v[90:91], v[176:177], s[0:1], v[154:155]
	v_add_f64 v[82:83], v[94:95], v[82:83]
	v_cmp_gt_u16_e64 s0, 39, v180
	v_add_f64 v[90:91], v[90:91], v[150:151]
	ds_write_b128 v168, v[120:123] offset:832
	ds_write_b128 v168, v[88:91] offset:1040
	;; [unrolled: 1-line block ×7, first 2 shown]
	ds_write_b128 v168, v[40:43]
	s_waitcnt lgkmcnt(0)
	s_barrier
	buffer_gl0_inv
	ds_read_b128 v[116:119], v255
	ds_read_b128 v[144:147], v255 offset:2288
	ds_read_b128 v[140:143], v255 offset:4576
	;; [unrolled: 1-line block ×7, first 2 shown]
	s_and_saveexec_b32 s1, s0
	s_cbranch_execz .LBB0_9
; %bb.8:
	ds_read_b128 v[104:107], v255 offset:1664
	ds_read_b128 v[112:115], v255 offset:3952
	;; [unrolled: 1-line block ×8, first 2 shown]
.LBB0_9:
	s_or_b32 exec_lo, exec_lo, s1
	buffer_load_dword v42, off, s[48:51], 0 ; 4-byte Folded Reload
	s_mov_b32 s9, 0x3fe6a09e
	s_waitcnt vmcnt(0)
	v_mad_u64_u32 v[40:41], null, 0x70, v42, s[2:3]
	v_add_nc_u32_e32 v46, 0x68, v42
	v_subrev_nc_u32_e32 v47, 39, v42
	v_cndmask_b32_e64 v46, v47, v46, s0
	v_add_co_u32 v42, s1, 0x800, v40
	v_add_co_ci_u32_e64 v43, s1, 0, v41, s1
	v_add_co_u32 v44, s1, 0x820, v40
	v_add_co_ci_u32_e64 v45, s1, 0, v41, s1
	s_clause 0x3
	global_load_dwordx4 v[76:79], v[42:43], off offset:32
	global_load_dwordx4 v[72:75], v[44:45], off offset:48
	global_load_dwordx4 v[68:71], v[44:45], off offset:32
	global_load_dwordx4 v[80:83], v[44:45], off offset:16
	v_mul_i32_i24_e32 v45, 0x70, v46
	v_mul_hi_i32_i24_e32 v44, 0x70, v46
	v_add_co_u32 v40, s1, 0x860, v40
	v_add_co_ci_u32_e64 v41, s1, 0, v41, s1
	v_add_co_u32 v54, s1, s2, v45
	v_add_co_ci_u32_e64 v55, s1, s3, v44, s1
	global_load_dwordx4 v[84:87], v[42:43], off offset:96
	v_add_co_u32 v56, s1, 0x800, v54
	v_add_co_ci_u32_e64 v57, s1, 0, v55, s1
	v_add_co_u32 v52, s1, 0x820, v54
	v_add_co_ci_u32_e64 v53, s1, 0, v55, s1
	;; [unrolled: 2-line block ×3, first 2 shown]
	s_clause 0x8
	global_load_dwordx4 v[92:95], v[40:41], off offset:16
	global_load_dwordx4 v[88:91], v[40:41], off offset:32
	;; [unrolled: 1-line block ×9, first 2 shown]
	s_mov_b32 s2, 0x667f3bcd
	s_mov_b32 s3, 0xbfe6a09e
	;; [unrolled: 1-line block ×3, first 2 shown]
	s_waitcnt vmcnt(13) lgkmcnt(6)
	v_mul_f64 v[160:161], v[146:147], v[78:79]
	v_mul_f64 v[162:163], v[144:145], v[78:79]
	s_waitcnt vmcnt(11) lgkmcnt(4)
	v_mul_f64 v[169:170], v[138:139], v[70:71]
	s_waitcnt vmcnt(10)
	v_mul_f64 v[164:165], v[142:143], v[82:83]
	v_mul_f64 v[166:167], v[140:141], v[82:83]
	;; [unrolled: 1-line block ×3, first 2 shown]
	s_waitcnt lgkmcnt(3)
	v_mul_f64 v[173:174], v[130:131], v[74:75]
	v_mul_f64 v[175:176], v[128:129], v[74:75]
	s_waitcnt vmcnt(9) lgkmcnt(2)
	v_mul_f64 v[177:178], v[122:123], v[86:87]
	v_mul_f64 v[179:180], v[120:121], v[86:87]
	v_fma_f64 v[144:145], v[144:145], v[76:77], -v[160:161]
	s_waitcnt vmcnt(8) lgkmcnt(1)
	v_mul_f64 v[181:182], v[134:135], v[94:95]
	v_mul_f64 v[183:184], v[132:133], v[94:95]
	s_waitcnt vmcnt(7) lgkmcnt(0)
	v_mul_f64 v[185:186], v[126:127], v[90:91]
	v_mul_f64 v[187:188], v[124:125], v[90:91]
	s_waitcnt vmcnt(6)
	v_mul_f64 v[189:190], v[114:115], v[42:43]
	v_mul_f64 v[191:192], v[112:113], v[42:43]
	s_waitcnt vmcnt(4)
	v_mul_f64 v[193:194], v[110:111], v[50:51]
	v_mul_f64 v[195:196], v[108:109], v[50:51]
	;; [unrolled: 1-line block ×4, first 2 shown]
	s_waitcnt vmcnt(3)
	v_mul_f64 v[201:202], v[102:103], v[54:55]
	v_mul_f64 v[203:204], v[100:101], v[54:55]
	s_waitcnt vmcnt(2)
	v_mul_f64 v[205:206], v[150:151], v[58:59]
	v_mul_f64 v[207:208], v[148:149], v[58:59]
	;; [unrolled: 3-line block ×4, first 2 shown]
	v_fma_f64 v[146:147], v[146:147], v[76:77], v[162:163]
	v_fma_f64 v[140:141], v[140:141], v[80:81], -v[164:165]
	v_fma_f64 v[142:143], v[142:143], v[80:81], v[166:167]
	v_fma_f64 v[136:137], v[136:137], v[68:69], -v[169:170]
	v_fma_f64 v[138:139], v[138:139], v[68:69], v[171:172]
	v_fma_f64 v[128:129], v[128:129], v[72:73], -v[173:174]
	v_fma_f64 v[130:131], v[130:131], v[72:73], v[175:176]
	v_fma_f64 v[132:133], v[132:133], v[92:93], -v[181:182]
	v_fma_f64 v[134:135], v[134:135], v[92:93], v[183:184]
	v_fma_f64 v[120:121], v[120:121], v[84:85], -v[177:178]
	v_fma_f64 v[122:123], v[122:123], v[84:85], v[179:180]
	v_fma_f64 v[124:125], v[124:125], v[88:89], -v[185:186]
	v_fma_f64 v[126:127], v[126:127], v[88:89], v[187:188]
	v_fma_f64 v[112:113], v[112:113], v[40:41], -v[189:190]
	v_fma_f64 v[114:115], v[114:115], v[40:41], v[191:192]
	v_fma_f64 v[108:109], v[108:109], v[48:49], -v[193:194]
	v_fma_f64 v[110:111], v[110:111], v[48:49], v[195:196]
	v_fma_f64 v[100:101], v[100:101], v[52:53], -v[201:202]
	v_fma_f64 v[102:103], v[102:103], v[52:53], v[203:204]
	v_fma_f64 v[152:153], v[152:153], v[64:65], -v[209:210]
	v_fma_f64 v[154:155], v[154:155], v[64:65], v[211:212]
	v_fma_f64 v[148:149], v[148:149], v[56:57], -v[205:206]
	v_fma_f64 v[150:151], v[150:151], v[56:57], v[207:208]
	v_fma_f64 v[96:97], v[96:97], v[44:45], -v[197:198]
	v_fma_f64 v[98:99], v[98:99], v[44:45], v[199:200]
	v_fma_f64 v[156:157], v[156:157], v[60:61], -v[213:214]
	v_fma_f64 v[158:159], v[158:159], v[60:61], v[215:216]
	v_add_f64 v[128:129], v[116:117], -v[128:129]
	v_add_f64 v[130:131], v[118:119], -v[130:131]
	;; [unrolled: 1-line block ×16, first 2 shown]
	v_fma_f64 v[116:117], v[116:117], 2.0, -v[128:129]
	v_fma_f64 v[118:119], v[118:119], 2.0, -v[130:131]
	;; [unrolled: 1-line block ×8, first 2 shown]
	v_add_f64 v[164:165], v[128:129], -v[134:135]
	v_add_f64 v[166:167], v[130:131], v[132:133]
	v_add_f64 v[126:127], v[120:121], -v[126:127]
	v_add_f64 v[124:125], v[122:123], v[124:125]
	v_fma_f64 v[104:105], v[104:105], 2.0, -v[100:101]
	v_fma_f64 v[106:107], v[106:107], 2.0, -v[102:103]
	;; [unrolled: 1-line block ×6, first 2 shown]
	v_add_f64 v[169:170], v[100:101], -v[154:155]
	v_add_f64 v[171:172], v[102:103], v[152:153]
	v_fma_f64 v[96:97], v[96:97], 2.0, -v[156:157]
	v_fma_f64 v[98:99], v[98:99], 2.0, -v[158:159]
	v_add_f64 v[158:159], v[148:149], -v[158:159]
	v_add_f64 v[156:157], v[150:151], v[156:157]
	v_add_f64 v[160:161], v[116:117], -v[140:141]
	v_add_f64 v[162:163], v[118:119], -v[142:143]
	v_add_f64 v[132:133], v[146:147], -v[138:139]
	v_fma_f64 v[173:174], v[128:129], 2.0, -v[164:165]
	v_fma_f64 v[130:131], v[130:131], 2.0, -v[166:167]
	v_add_f64 v[128:129], v[144:145], -v[136:137]
	v_fma_f64 v[120:121], v[120:121], 2.0, -v[126:127]
	v_fma_f64 v[122:123], v[122:123], 2.0, -v[124:125]
	v_add_f64 v[108:109], v[104:105], -v[108:109]
	v_add_f64 v[110:111], v[106:107], -v[110:111]
	v_fma_f64 v[136:137], v[100:101], 2.0, -v[169:170]
	v_fma_f64 v[138:139], v[102:103], 2.0, -v[171:172]
	v_add_f64 v[96:97], v[112:113], -v[96:97]
	v_add_f64 v[98:99], v[114:115], -v[98:99]
	v_fma_f64 v[175:176], v[148:149], 2.0, -v[158:159]
	v_fma_f64 v[177:178], v[150:151], 2.0, -v[156:157]
	v_fma_f64 v[100:101], v[126:127], s[8:9], v[164:165]
	v_fma_f64 v[102:103], v[124:125], s[8:9], v[166:167]
	;; [unrolled: 1-line block ×3, first 2 shown]
	v_fma_f64 v[116:117], v[116:117], 2.0, -v[160:161]
	v_fma_f64 v[118:119], v[118:119], 2.0, -v[162:163]
	;; [unrolled: 1-line block ×3, first 2 shown]
	v_fma_f64 v[187:188], v[156:157], s[8:9], v[171:172]
	v_add_f64 v[140:141], v[160:161], -v[132:133]
	v_fma_f64 v[144:145], v[144:145], 2.0, -v[128:129]
	v_fma_f64 v[148:149], v[120:121], s[2:3], v[173:174]
	v_fma_f64 v[150:151], v[122:123], s[2:3], v[130:131]
	v_add_f64 v[142:143], v[162:163], v[128:129]
	v_fma_f64 v[181:182], v[104:105], 2.0, -v[108:109]
	v_fma_f64 v[183:184], v[106:107], 2.0, -v[110:111]
	;; [unrolled: 1-line block ×4, first 2 shown]
	v_fma_f64 v[114:115], v[175:176], s[2:3], v[136:137]
	v_fma_f64 v[185:186], v[177:178], s[2:3], v[138:139]
	;; [unrolled: 1-line block ×4, first 2 shown]
	v_add_f64 v[100:101], v[108:109], -v[98:99]
	v_add_f64 v[102:103], v[110:111], v[96:97]
	v_fma_f64 v[104:105], v[156:157], s[2:3], v[179:180]
	v_add_f64 v[154:155], v[118:119], -v[146:147]
	v_fma_f64 v[160:161], v[160:161], 2.0, -v[140:141]
	v_add_f64 v[152:153], v[116:117], -v[144:145]
	v_fma_f64 v[148:149], v[122:123], s[2:3], v[148:149]
	v_fma_f64 v[150:151], v[120:121], s[8:9], v[150:151]
	v_fma_f64 v[162:163], v[162:163], 2.0, -v[142:143]
	v_add_f64 v[120:121], v[181:182], -v[106:107]
	v_add_f64 v[122:123], v[183:184], -v[112:113]
	v_fma_f64 v[96:97], v[177:178], s[2:3], v[114:115]
	v_fma_f64 v[98:99], v[175:176], s[8:9], v[185:186]
	v_fma_f64 v[106:107], v[158:159], s[8:9], v[187:188]
	v_fma_f64 v[156:157], v[164:165], 2.0, -v[132:133]
	v_fma_f64 v[158:159], v[166:167], 2.0, -v[134:135]
	;; [unrolled: 1-line block ×9, first 2 shown]
	ds_write_b128 v255, v[116:119]
	ds_write_b128 v255, v[164:167] offset:2288
	ds_write_b128 v255, v[160:163] offset:4576
	;; [unrolled: 1-line block ×7, first 2 shown]
	v_fma_f64 v[144:145], v[181:182], 2.0, -v[120:121]
	v_fma_f64 v[146:147], v[183:184], 2.0, -v[122:123]
	;; [unrolled: 1-line block ×5, first 2 shown]
	s_and_saveexec_b32 s1, s0
	s_cbranch_execz .LBB0_11
; %bb.10:
	ds_write_b128 v255, v[144:147] offset:1664
	ds_write_b128 v255, v[136:139] offset:3952
	;; [unrolled: 1-line block ×8, first 2 shown]
.LBB0_11:
	s_or_b32 exec_lo, exec_lo, s1
	s_waitcnt lgkmcnt(0)
	s_barrier
	buffer_gl0_inv
	s_and_saveexec_b32 s2, vcc_lo
	s_cbranch_execz .LBB0_13
; %bb.12:
	v_add_co_u32 v169, s1, s14, v255
	v_add_co_ci_u32_e64 v170, null, s15, 0, s1
	v_add_co_u32 v108, s1, 0x4000, v169
	v_add_co_ci_u32_e64 v109, s1, 0, v170, s1
	v_add_co_u32 v112, s1, 0x4780, v169
	v_add_co_ci_u32_e64 v113, s1, 0, v170, s1
	global_load_dwordx4 v[108:111], v[108:109], off offset:1920
	v_add_co_u32 v171, s1, 0x5000, v169
	global_load_dwordx4 v[112:115], v[112:113], off offset:1408
	v_add_co_ci_u32_e64 v172, s1, 0, v170, s1
	v_add_co_u32 v179, s1, 0x5800, v169
	v_add_co_ci_u32_e64 v180, s1, 0, v170, s1
	s_clause 0x2
	global_load_dwordx4 v[171:174], v[171:172], off offset:640
	global_load_dwordx4 v[175:178], v[179:180], off
	global_load_dwordx4 v[179:182], v[179:180], off offset:1408
	v_add_co_u32 v183, s1, 0x6000, v169
	v_add_co_ci_u32_e64 v184, s1, 0, v170, s1
	v_add_co_u32 v191, s1, 0x6800, v169
	v_add_co_ci_u32_e64 v192, s1, 0, v170, s1
	s_clause 0x2
	global_load_dwordx4 v[183:186], v[183:184], off offset:768
	global_load_dwordx4 v[187:190], v[191:192], off offset:128
	global_load_dwordx4 v[191:194], v[191:192], off offset:1536
	v_add_co_u32 v195, s1, 0x7000, v169
	v_add_co_ci_u32_e64 v196, s1, 0, v170, s1
	v_add_co_u32 v203, s1, 0x7800, v169
	v_add_co_ci_u32_e64 v204, s1, 0, v170, s1
	s_clause 0x2
	global_load_dwordx4 v[195:198], v[195:196], off offset:896
	global_load_dwordx4 v[199:202], v[203:204], off offset:256
	;; [unrolled: 8-line block ×3, first 2 shown]
	ds_read_b128 v[215:218], v255
	ds_read_b128 v[219:222], v255 offset:1408
	ds_read_b128 v[223:226], v255 offset:2816
	s_waitcnt vmcnt(12) lgkmcnt(2)
	v_mul_f64 v[169:170], v[217:218], v[110:111]
	v_mul_f64 v[110:111], v[215:216], v[110:111]
	s_waitcnt vmcnt(11) lgkmcnt(1)
	v_mul_f64 v[227:228], v[221:222], v[114:115]
	v_mul_f64 v[114:115], v[219:220], v[114:115]
	v_fma_f64 v[215:216], v[215:216], v[108:109], -v[169:170]
	v_fma_f64 v[217:218], v[217:218], v[108:109], v[110:111]
	ds_read_b128 v[108:111], v255 offset:4224
	s_waitcnt vmcnt(10) lgkmcnt(1)
	v_mul_f64 v[169:170], v[225:226], v[173:174]
	v_mul_f64 v[173:174], v[223:224], v[173:174]
	v_fma_f64 v[219:220], v[219:220], v[112:113], -v[227:228]
	v_fma_f64 v[221:222], v[221:222], v[112:113], v[114:115]
	ds_read_b128 v[112:115], v255 offset:5632
	;; [unrolled: 6-line block ×10, first 2 shown]
	s_waitcnt vmcnt(1) lgkmcnt(1)
	v_mul_f64 v[201:202], v[225:226], v[209:210]
	v_mul_f64 v[209:210], v[223:224], v[209:210]
	v_fma_f64 v[189:190], v[189:190], v[203:204], -v[229:230]
	v_fma_f64 v[191:192], v[191:192], v[203:204], v[205:206]
	s_waitcnt vmcnt(0) lgkmcnt(0)
	v_mul_f64 v[205:206], v[199:200], v[213:214]
	v_mul_f64 v[213:214], v[197:198], v[213:214]
	v_fma_f64 v[201:202], v[223:224], v[207:208], -v[201:202]
	v_fma_f64 v[203:204], v[225:226], v[207:208], v[209:210]
	v_fma_f64 v[197:198], v[197:198], v[211:212], -v[205:206]
	v_fma_f64 v[199:200], v[199:200], v[211:212], v[213:214]
	ds_write_b128 v255, v[215:218]
	ds_write_b128 v255, v[219:222] offset:1408
	ds_write_b128 v255, v[169:172] offset:2816
	;; [unrolled: 1-line block ×12, first 2 shown]
.LBB0_13:
	s_or_b32 exec_lo, exec_lo, s2
	s_waitcnt lgkmcnt(0)
	s_barrier
	buffer_gl0_inv
	s_and_saveexec_b32 s1, vcc_lo
	s_cbranch_execz .LBB0_15
; %bb.14:
	ds_read_b128 v[116:119], v255
	ds_read_b128 v[164:167], v255 offset:1408
	ds_read_b128 v[160:163], v255 offset:2816
	;; [unrolled: 1-line block ×12, first 2 shown]
.LBB0_15:
	s_or_b32 exec_lo, exec_lo, s1
	s_waitcnt lgkmcnt(0)
	v_add_f64 v[187:188], v[166:167], -v[122:123]
	s_mov_b32 s26, 0x4267c47c
	s_mov_b32 s27, 0xbfddbe06
	v_add_f64 v[171:172], v[162:163], -v[126:127]
	s_mov_b32 s8, 0x42a4c3d2
	s_mov_b32 s9, 0xbfea55e2
	v_add_f64 v[185:186], v[120:121], v[164:165]
	v_add_f64 v[225:226], v[122:123], v[166:167]
	s_mov_b32 s2, 0xe00740e9
	s_mov_b32 s3, 0x3fec55a7
	v_add_f64 v[169:170], v[160:161], v[124:125]
	v_add_f64 v[231:232], v[164:165], -v[120:121]
	s_mov_b32 s10, 0x1ea71119
	s_mov_b32 s11, 0x3fe22d96
	v_add_f64 v[173:174], v[162:163], v[126:127]
	v_add_f64 v[179:180], v[160:161], -v[124:125]
	v_add_f64 v[177:178], v[158:159], -v[130:131]
	s_mov_b32 s22, 0x66966769
	s_mov_b32 s23, 0xbfefc445
	v_add_f64 v[175:176], v[128:129], v[156:157]
	s_mov_b32 s16, 0xebaa3ed8
	s_mov_b32 s17, 0x3fbedb7d
	v_mul_f64 v[108:109], v[187:188], s[26:27]
	v_add_f64 v[181:182], v[130:131], v[158:159]
	v_add_f64 v[201:202], v[156:157], -v[128:129]
	v_mul_f64 v[110:111], v[171:172], s[8:9]
	v_add_f64 v[189:190], v[154:155], -v[138:139]
	s_mov_b32 s31, 0xbfedeba7
	s_mov_b32 s30, 0x2ef20147
	v_mul_f64 v[239:240], v[225:226], s[2:3]
	v_add_f64 v[183:184], v[136:137], v[152:153]
	v_add_f64 v[197:198], v[138:139], v[154:155]
	s_mov_b32 s18, 0xb2365da1
	s_mov_b32 s19, 0xbfd6b1d8
	v_add_f64 v[211:212], v[152:153], -v[136:137]
	v_add_f64 v[195:196], v[150:151], -v[146:147]
	s_mov_b32 s34, 0x24c2f84
	s_mov_b32 s35, 0x3fe5384d
	;; [unrolled: 1-line block ×4, first 2 shown]
	v_add_f64 v[193:194], v[148:149], v[144:145]
	v_add_f64 v[205:206], v[150:151], v[146:147]
	s_mov_b32 s20, 0xd0032e0c
	s_mov_b32 s21, 0xbfe7f3cc
	buffer_store_dword v108, off, s[48:51], 0 offset:16 ; 4-byte Folded Spill
	buffer_store_dword v109, off, s[48:51], 0 offset:20 ; 4-byte Folded Spill
	;; [unrolled: 1-line block ×4, first 2 shown]
	v_add_f64 v[209:210], v[148:149], -v[144:145]
	v_add_f64 v[199:200], v[142:143], -v[134:135]
	s_mov_b32 s36, 0x4bc48dbf
	v_fma_f64 v[112:113], v[231:232], s[26:27], v[239:240]
	s_mov_b32 s37, 0xbfcea1e5
	v_mul_f64 v[227:228], v[197:198], s[18:19]
	v_add_f64 v[191:192], v[132:133], v[140:141]
	v_add_f64 v[203:204], v[134:135], v[142:143]
	s_mov_b32 s24, 0x93053d00
	v_mul_f64 v[229:230], v[195:196], s[38:39]
	s_mov_b32 s25, 0xbfef11f4
	v_add_f64 v[207:208], v[140:141], -v[132:133]
	v_mul_f64 v[219:220], v[187:188], s[8:9]
	v_mul_f64 v[235:236], v[171:172], s[30:31]
	v_mul_f64 v[221:222], v[225:226], s[10:11]
	v_mul_f64 v[237:238], v[205:206], s[20:21]
	v_mul_f64 v[247:248], v[173:174], s[18:19]
	v_mul_f64 v[241:242], v[177:178], s[36:37]
	v_mul_f64 v[253:254], v[181:182], s[24:25]
	v_mul_f64 v[245:246], v[189:190], s[34:35]
	s_mov_b32 s41, 0x3fefc445
	s_mov_b32 s40, s22
	;; [unrolled: 1-line block ×3, first 2 shown]
	v_mul_f64 v[233:234], v[199:200], s[36:37]
	v_mul_f64 v[249:250], v[195:196], s[40:41]
	s_mov_b32 s28, s26
	v_mul_f64 v[251:252], v[199:200], s[28:29]
	v_mul_f64 v[243:244], v[203:204], s[24:25]
	v_fma_f64 v[114:115], v[169:170], s[18:19], -v[235:236]
	v_fma_f64 v[213:214], v[179:180], s[30:31], v[247:248]
	v_fma_f64 v[108:109], v[185:186], s[2:3], -v[108:109]
	v_fma_f64 v[110:111], v[169:170], s[10:11], -v[110:111]
	v_add_f64 v[108:109], v[116:117], v[108:109]
	v_add_f64 v[108:109], v[110:111], v[108:109]
	;; [unrolled: 1-line block ×3, first 2 shown]
	v_mul_f64 v[112:113], v[173:174], s[10:11]
	buffer_store_dword v112, off, s[48:51], 0 offset:32 ; 4-byte Folded Spill
	buffer_store_dword v113, off, s[48:51], 0 offset:36 ; 4-byte Folded Spill
	v_fma_f64 v[112:113], v[179:180], s[8:9], v[112:113]
	v_add_f64 v[110:111], v[112:113], v[110:111]
	v_mul_f64 v[112:113], v[177:178], s[22:23]
	buffer_store_dword v112, off, s[48:51], 0 offset:40 ; 4-byte Folded Spill
	buffer_store_dword v113, off, s[48:51], 0 offset:44 ; 4-byte Folded Spill
	v_fma_f64 v[112:113], v[175:176], s[16:17], -v[112:113]
	v_add_f64 v[108:109], v[112:113], v[108:109]
	v_mul_f64 v[112:113], v[181:182], s[16:17]
	buffer_store_dword v112, off, s[48:51], 0 offset:48 ; 4-byte Folded Spill
	buffer_store_dword v113, off, s[48:51], 0 offset:52 ; 4-byte Folded Spill
	v_fma_f64 v[112:113], v[201:202], s[22:23], v[112:113]
	v_add_f64 v[110:111], v[112:113], v[110:111]
	v_mul_f64 v[112:113], v[189:190], s[30:31]
	buffer_store_dword v112, off, s[48:51], 0 offset:56 ; 4-byte Folded Spill
	buffer_store_dword v113, off, s[48:51], 0 offset:60 ; 4-byte Folded Spill
	s_waitcnt_vscnt null, 0x0
	s_barrier
	buffer_gl0_inv
	v_fma_f64 v[112:113], v[183:184], s[18:19], -v[112:113]
	v_add_f64 v[108:109], v[112:113], v[108:109]
	v_fma_f64 v[112:113], v[211:212], s[30:31], v[227:228]
	v_add_f64 v[110:111], v[112:113], v[110:111]
	v_fma_f64 v[112:113], v[193:194], s[20:21], -v[229:230]
	v_add_f64 v[108:109], v[112:113], v[108:109]
	v_fma_f64 v[112:113], v[209:210], s[38:39], v[237:238]
	v_add_f64 v[110:111], v[112:113], v[110:111]
	;; [unrolled: 4-line block ×3, first 2 shown]
	v_fma_f64 v[112:113], v[185:186], s[10:11], -v[219:220]
	v_add_f64 v[112:113], v[116:117], v[112:113]
	v_add_f64 v[112:113], v[114:115], v[112:113]
	v_fma_f64 v[114:115], v[231:232], s[8:9], v[221:222]
	v_add_f64 v[114:115], v[118:119], v[114:115]
	v_add_f64 v[114:115], v[213:214], v[114:115]
	v_fma_f64 v[213:214], v[175:176], s[24:25], -v[241:242]
	v_add_f64 v[112:113], v[213:214], v[112:113]
	v_fma_f64 v[213:214], v[201:202], s[36:37], v[253:254]
	v_add_f64 v[114:115], v[213:214], v[114:115]
	v_fma_f64 v[213:214], v[183:184], s[20:21], -v[245:246]
	v_add_f64 v[112:113], v[213:214], v[112:113]
	v_mul_f64 v[213:214], v[197:198], s[20:21]
	v_fma_f64 v[215:216], v[211:212], s[34:35], v[213:214]
	v_add_f64 v[114:115], v[215:216], v[114:115]
	v_fma_f64 v[215:216], v[193:194], s[16:17], -v[249:250]
	v_add_f64 v[112:113], v[215:216], v[112:113]
	v_mul_f64 v[215:216], v[205:206], s[16:17]
	;; [unrolled: 5-line block ×3, first 2 shown]
	v_fma_f64 v[223:224], v[207:208], s[28:29], v[217:218]
	v_add_f64 v[114:115], v[223:224], v[114:115]
	s_and_saveexec_b32 s1, vcc_lo
	s_cbranch_execz .LBB0_17
; %bb.16:
	v_add_f64 v[166:167], v[118:119], v[166:167]
	v_add_f64 v[164:165], v[116:117], v[164:165]
	;; [unrolled: 1-line block ×10, first 2 shown]
	v_mul_f64 v[152:153], v[187:188], s[30:31]
	v_mul_f64 v[154:155], v[187:188], s[22:23]
	v_add_f64 v[142:143], v[142:143], v[150:151]
	v_add_f64 v[140:141], v[140:141], v[148:149]
	v_mul_f64 v[148:149], v[187:188], s[36:37]
	v_mul_f64 v[150:151], v[187:188], s[38:39]
	v_fma_f64 v[160:161], v[185:186], s[18:19], -v[152:153]
	v_fma_f64 v[152:153], v[185:186], s[18:19], v[152:153]
	v_fma_f64 v[162:163], v[185:186], s[16:17], v[154:155]
	v_fma_f64 v[154:155], v[185:186], s[16:17], -v[154:155]
	v_add_f64 v[134:135], v[134:135], v[142:143]
	v_add_f64 v[132:133], v[132:133], v[140:141]
	v_fma_f64 v[156:157], v[185:186], s[24:25], -v[148:149]
	v_fma_f64 v[148:149], v[185:186], s[24:25], v[148:149]
	v_fma_f64 v[158:159], v[185:186], s[20:21], -v[150:151]
	v_fma_f64 v[150:151], v[185:186], s[20:21], v[150:151]
	v_add_f64 v[160:161], v[116:117], v[160:161]
	v_add_f64 v[162:163], v[116:117], v[162:163]
	;; [unrolled: 1-line block ×12, first 2 shown]
	v_mul_f64 v[136:137], v[231:232], s[30:31]
	v_mul_f64 v[138:139], v[231:232], s[22:23]
	v_add_f64 v[130:131], v[130:131], v[134:135]
	v_add_f64 v[128:129], v[128:129], v[132:133]
	v_mul_f64 v[134:135], v[231:232], s[38:39]
	v_mul_f64 v[132:133], v[231:232], s[36:37]
	v_fma_f64 v[144:145], v[225:226], s[18:19], v[136:137]
	v_fma_f64 v[136:137], v[225:226], s[18:19], -v[136:137]
	v_fma_f64 v[146:147], v[225:226], s[16:17], -v[138:139]
	v_fma_f64 v[138:139], v[225:226], s[16:17], v[138:139]
	v_add_f64 v[126:127], v[126:127], v[130:131]
	s_clause 0x1
	buffer_load_dword v130, off, s[48:51], 0 offset:16
	buffer_load_dword v131, off, s[48:51], 0 offset:20
	v_add_f64 v[124:125], v[124:125], v[128:129]
	v_mul_f64 v[128:129], v[185:186], s[2:3]
	v_fma_f64 v[142:143], v[225:226], s[20:21], v[134:135]
	v_fma_f64 v[134:135], v[225:226], s[20:21], -v[134:135]
	v_fma_f64 v[140:141], v[225:226], s[24:25], v[132:133]
	v_fma_f64 v[132:133], v[225:226], s[24:25], -v[132:133]
	v_add_f64 v[166:167], v[118:119], v[136:137]
	v_add_f64 v[136:137], v[118:119], v[146:147]
	;; [unrolled: 1-line block ×4, first 2 shown]
	v_mul_f64 v[225:226], v[207:208], s[40:41]
	v_add_f64 v[122:123], v[122:123], v[126:127]
	v_mul_f64 v[126:127], v[231:232], s[26:27]
	v_add_f64 v[120:121], v[120:121], v[124:125]
	;; [unrolled: 2-line block ×3, first 2 shown]
	v_add_f64 v[164:165], v[118:119], v[134:135]
	v_add_f64 v[140:141], v[118:119], v[140:141]
	;; [unrolled: 1-line block ×3, first 2 shown]
	s_mov_b32 s27, 0x3fea55e2
	s_mov_b32 s26, s8
	v_mul_f64 v[231:232], v[199:200], s[40:41]
	v_add_f64 v[126:127], v[239:240], -v[126:127]
	v_add_f64 v[124:125], v[221:222], -v[124:125]
	v_add_f64 v[146:147], v[118:119], v[126:127]
	v_mul_f64 v[126:127], v[171:172], s[28:29]
	v_add_f64 v[134:135], v[118:119], v[124:125]
	v_mul_f64 v[124:125], v[179:180], s[28:29]
	v_fma_f64 v[118:119], v[169:170], s[2:3], -v[126:127]
	v_fma_f64 v[126:127], v[169:170], s[2:3], v[126:127]
	v_add_f64 v[118:119], v[118:119], v[156:157]
	v_add_f64 v[126:127], v[126:127], v[148:149]
	s_waitcnt vmcnt(0)
	v_add_f64 v[128:129], v[128:129], v[130:131]
	v_mul_f64 v[130:131], v[185:186], s[10:11]
	v_add_f64 v[128:129], v[116:117], v[128:129]
	v_add_f64 v[130:131], v[130:131], v[219:220]
	v_add_f64 v[185:186], v[116:117], v[130:131]
	v_fma_f64 v[116:117], v[173:174], s[2:3], v[124:125]
	v_mul_f64 v[130:131], v[201:202], s[38:39]
	v_fma_f64 v[124:125], v[173:174], s[2:3], -v[124:125]
	v_add_f64 v[116:117], v[116:117], v[140:141]
	v_fma_f64 v[138:139], v[181:182], s[20:21], v[130:131]
	v_add_f64 v[124:125], v[124:125], v[132:133]
	v_fma_f64 v[130:131], v[181:182], s[20:21], -v[130:131]
	v_fma_f64 v[132:133], v[191:192], s[16:17], v[231:232]
	v_add_f64 v[116:117], v[138:139], v[116:117]
	v_mul_f64 v[138:139], v[177:178], s[38:39]
	v_add_f64 v[124:125], v[130:131], v[124:125]
	v_fma_f64 v[140:141], v[175:176], s[20:21], -v[138:139]
	v_fma_f64 v[130:131], v[175:176], s[20:21], v[138:139]
	v_add_f64 v[118:119], v[140:141], v[118:119]
	v_mul_f64 v[140:141], v[211:212], s[26:27]
	v_add_f64 v[126:127], v[130:131], v[126:127]
	v_fma_f64 v[156:157], v[197:198], s[10:11], v[140:141]
	v_fma_f64 v[130:131], v[197:198], s[10:11], -v[140:141]
	v_add_f64 v[116:117], v[156:157], v[116:117]
	v_mul_f64 v[156:157], v[189:190], s[26:27]
	v_add_f64 v[124:125], v[130:131], v[124:125]
	v_fma_f64 v[219:220], v[183:184], s[10:11], -v[156:157]
	v_fma_f64 v[130:131], v[183:184], s[10:11], v[156:157]
	v_mul_f64 v[156:157], v[183:184], s[18:19]
	v_add_f64 v[118:119], v[219:220], v[118:119]
	v_mul_f64 v[219:220], v[209:210], s[30:31]
	v_add_f64 v[126:127], v[130:131], v[126:127]
	v_fma_f64 v[221:222], v[205:206], s[18:19], v[219:220]
	v_fma_f64 v[130:131], v[205:206], s[18:19], -v[219:220]
	v_add_f64 v[116:117], v[221:222], v[116:117]
	v_mul_f64 v[221:222], v[195:196], s[30:31]
	v_add_f64 v[124:125], v[130:131], v[124:125]
	v_fma_f64 v[130:131], v[193:194], s[18:19], v[221:222]
	v_fma_f64 v[223:224], v[193:194], s[18:19], -v[221:222]
	v_add_f64 v[130:131], v[130:131], v[126:127]
	v_fma_f64 v[126:127], v[203:204], s[16:17], -v[225:226]
	v_add_f64 v[223:224], v[223:224], v[118:119]
	v_fma_f64 v[118:119], v[203:204], s[16:17], v[225:226]
	v_mul_f64 v[225:226], v[199:200], s[38:39]
	v_add_f64 v[126:127], v[126:127], v[124:125]
	v_add_f64 v[124:125], v[132:133], v[130:131]
	s_clause 0x9
	buffer_load_dword v132, off, s[48:51], 0 offset:32
	buffer_load_dword v133, off, s[48:51], 0 offset:36
	;; [unrolled: 1-line block ×10, first 2 shown]
	v_mul_f64 v[130:131], v[179:180], s[8:9]
	v_add_f64 v[118:119], v[118:119], v[116:117]
	v_fma_f64 v[116:117], v[191:192], s[16:17], -v[231:232]
	v_add_f64 v[116:117], v[116:117], v[223:224]
	v_mul_f64 v[223:224], v[207:208], s[38:39]
	s_waitcnt vmcnt(8)
	v_add_f64 v[130:131], v[132:133], -v[130:131]
	v_mul_f64 v[132:133], v[169:170], s[10:11]
	s_waitcnt vmcnt(0)
	v_add_f64 v[156:157], v[156:157], v[219:220]
	v_mul_f64 v[219:220], v[209:210], s[38:39]
	v_add_f64 v[130:131], v[130:131], v[146:147]
	v_add_f64 v[132:133], v[132:133], v[138:139]
	v_mul_f64 v[138:139], v[201:202], s[22:23]
	v_mul_f64 v[146:147], v[175:176], s[24:25]
	v_add_f64 v[219:220], v[237:238], -v[219:220]
	v_add_f64 v[128:129], v[132:133], v[128:129]
	v_add_f64 v[138:139], v[140:141], -v[138:139]
	v_mul_f64 v[140:141], v[175:176], s[16:17]
	v_mul_f64 v[132:133], v[193:194], s[20:21]
	v_add_f64 v[146:147], v[146:147], v[241:242]
	v_add_f64 v[130:131], v[138:139], v[130:131]
	;; [unrolled: 1-line block ×3, first 2 shown]
	v_mul_f64 v[148:149], v[211:212], s[30:31]
	v_add_f64 v[132:133], v[132:133], v[229:230]
	v_mul_f64 v[138:139], v[207:208], s[36:37]
	v_add_f64 v[128:129], v[140:141], v[128:129]
	v_add_f64 v[148:149], v[227:228], -v[148:149]
	v_mul_f64 v[140:141], v[191:192], s[24:25]
	v_add_f64 v[138:139], v[243:244], -v[138:139]
	v_add_f64 v[128:129], v[156:157], v[128:129]
	v_add_f64 v[130:131], v[148:149], v[130:131]
	;; [unrolled: 1-line block ×3, first 2 shown]
	v_mul_f64 v[148:149], v[211:212], s[34:35]
	v_mul_f64 v[156:157], v[183:184], s[20:21]
	v_add_f64 v[128:129], v[132:133], v[128:129]
	v_add_f64 v[130:131], v[219:220], v[130:131]
	v_mul_f64 v[132:133], v[179:180], s[30:31]
	v_add_f64 v[148:149], v[213:214], -v[148:149]
	v_mul_f64 v[213:214], v[209:210], s[40:41]
	v_add_f64 v[156:157], v[156:157], v[245:246]
	v_add_f64 v[128:129], v[140:141], v[128:129]
	;; [unrolled: 1-line block ×3, first 2 shown]
	v_add_f64 v[132:133], v[247:248], -v[132:133]
	v_mul_f64 v[138:139], v[169:170], s[18:19]
	v_mul_f64 v[140:141], v[201:202], s[36:37]
	v_add_f64 v[213:214], v[215:216], -v[213:214]
	v_add_f64 v[132:133], v[132:133], v[134:135]
	v_add_f64 v[138:139], v[138:139], v[235:236]
	v_add_f64 v[140:141], v[253:254], -v[140:141]
	v_add_f64 v[134:135], v[138:139], v[185:186]
	v_add_f64 v[132:133], v[140:141], v[132:133]
	v_mul_f64 v[138:139], v[193:194], s[16:17]
	v_mul_f64 v[140:141], v[207:208], s[28:29]
	v_add_f64 v[134:135], v[146:147], v[134:135]
	v_add_f64 v[132:133], v[148:149], v[132:133]
	;; [unrolled: 1-line block ×3, first 2 shown]
	v_add_f64 v[140:141], v[217:218], -v[140:141]
	v_mul_f64 v[146:147], v[191:192], s[2:3]
	v_mul_f64 v[148:149], v[207:208], s[30:31]
	v_add_f64 v[134:135], v[156:157], v[134:135]
	v_add_f64 v[132:133], v[213:214], v[132:133]
	v_mul_f64 v[156:157], v[199:200], s[30:31]
	s_mov_b32 s31, 0x3fedeba7
	v_add_f64 v[146:147], v[146:147], v[251:252]
	v_add_f64 v[138:139], v[138:139], v[134:135]
	;; [unrolled: 1-line block ×3, first 2 shown]
	v_mul_f64 v[140:141], v[179:180], s[36:37]
	v_add_f64 v[132:133], v[146:147], v[138:139]
	v_mul_f64 v[146:147], v[171:172], s[36:37]
	v_fma_f64 v[138:139], v[173:174], s[24:25], -v[140:141]
	s_mov_b32 s37, 0x3fcea1e5
	v_fma_f64 v[140:141], v[173:174], s[24:25], v[140:141]
	v_add_f64 v[136:137], v[138:139], v[136:137]
	v_fma_f64 v[138:139], v[169:170], s[24:25], v[146:147]
	v_fma_f64 v[146:147], v[169:170], s[24:25], -v[146:147]
	v_add_f64 v[140:141], v[140:141], v[187:188]
	v_add_f64 v[138:139], v[138:139], v[162:163]
	v_mul_f64 v[162:163], v[201:202], s[30:31]
	v_add_f64 v[146:147], v[146:147], v[154:155]
	v_fma_f64 v[185:186], v[181:182], s[18:19], -v[162:163]
	v_fma_f64 v[162:163], v[181:182], s[18:19], v[162:163]
	v_add_f64 v[136:137], v[185:186], v[136:137]
	v_mul_f64 v[185:186], v[177:178], s[30:31]
	v_add_f64 v[140:141], v[162:163], v[140:141]
	v_fma_f64 v[213:214], v[175:176], s[18:19], v[185:186]
	v_add_f64 v[138:139], v[213:214], v[138:139]
	v_mul_f64 v[213:214], v[211:212], s[28:29]
	v_fma_f64 v[215:216], v[197:198], s[2:3], -v[213:214]
	v_add_f64 v[136:137], v[215:216], v[136:137]
	v_mul_f64 v[215:216], v[189:190], s[28:29]
	v_fma_f64 v[217:218], v[183:184], s[2:3], v[215:216]
	v_fma_f64 v[162:163], v[183:184], s[2:3], -v[215:216]
	v_add_f64 v[138:139], v[217:218], v[138:139]
	v_mul_f64 v[217:218], v[209:210], s[8:9]
	v_fma_f64 v[219:220], v[205:206], s[10:11], -v[217:218]
	v_add_f64 v[136:137], v[219:220], v[136:137]
	v_mul_f64 v[219:220], v[195:196], s[8:9]
	v_fma_f64 v[221:222], v[193:194], s[10:11], v[219:220]
	v_add_f64 v[221:222], v[221:222], v[138:139]
	v_fma_f64 v[138:139], v[203:204], s[20:21], -v[223:224]
	v_add_f64 v[138:139], v[138:139], v[136:137]
	v_fma_f64 v[136:137], v[191:192], s[20:21], v[225:226]
	v_add_f64 v[136:137], v[136:137], v[221:222]
	v_mul_f64 v[221:222], v[179:180], s[34:35]
	v_mul_f64 v[179:180], v[179:180], s[40:41]
	v_fma_f64 v[227:228], v[173:174], s[20:21], -v[221:222]
	v_add_f64 v[166:167], v[227:228], v[166:167]
	v_mul_f64 v[227:228], v[171:172], s[34:35]
	v_mul_f64 v[171:172], v[171:172], s[40:41]
	v_fma_f64 v[229:230], v[169:170], s[20:21], v[227:228]
	v_add_f64 v[152:153], v[229:230], v[152:153]
	v_mul_f64 v[229:230], v[201:202], s[28:29]
	v_fma_f64 v[231:232], v[181:182], s[2:3], -v[229:230]
	v_add_f64 v[166:167], v[231:232], v[166:167]
	v_mul_f64 v[231:232], v[177:178], s[28:29]
	v_fma_f64 v[233:234], v[175:176], s[2:3], v[231:232]
	v_add_f64 v[152:153], v[233:234], v[152:153]
	v_mul_f64 v[233:234], v[211:212], s[22:23]
	v_fma_f64 v[235:236], v[197:198], s[16:17], -v[233:234]
	v_add_f64 v[166:167], v[235:236], v[166:167]
	v_mul_f64 v[235:236], v[189:190], s[22:23]
	v_fma_f64 v[237:238], v[183:184], s[16:17], v[235:236]
	v_fma_f64 v[154:155], v[183:184], s[16:17], -v[235:236]
	v_add_f64 v[152:153], v[237:238], v[152:153]
	v_mul_f64 v[237:238], v[209:210], s[36:37]
	v_fma_f64 v[239:240], v[205:206], s[24:25], -v[237:238]
	v_add_f64 v[166:167], v[239:240], v[166:167]
	v_mul_f64 v[239:240], v[195:196], s[36:37]
	v_fma_f64 v[241:242], v[193:194], s[24:25], v[239:240]
	v_add_f64 v[152:153], v[241:242], v[152:153]
	v_fma_f64 v[241:242], v[173:174], s[16:17], v[179:180]
	v_fma_f64 v[179:180], v[173:174], s[16:17], -v[179:180]
	v_add_f64 v[142:143], v[241:242], v[142:143]
	v_fma_f64 v[241:242], v[169:170], s[16:17], -v[171:172]
	v_fma_f64 v[171:172], v[169:170], s[16:17], v[171:172]
	v_add_f64 v[164:165], v[179:180], v[164:165]
	v_mul_f64 v[179:180], v[201:202], s[8:9]
	v_add_f64 v[158:159], v[241:242], v[158:159]
	v_add_f64 v[150:151], v[171:172], v[150:151]
	v_fma_f64 v[171:172], v[173:174], s[20:21], v[221:222]
	v_fma_f64 v[201:202], v[181:182], s[10:11], v[179:180]
	v_fma_f64 v[179:180], v[181:182], s[10:11], -v[179:180]
	v_fma_f64 v[173:174], v[205:206], s[24:25], v[237:238]
	v_add_f64 v[144:145], v[171:172], v[144:145]
	v_mul_f64 v[171:172], v[177:178], s[8:9]
	v_add_f64 v[164:165], v[179:180], v[164:165]
	v_add_f64 v[142:143], v[201:202], v[142:143]
	v_fma_f64 v[177:178], v[175:176], s[10:11], -v[171:172]
	v_fma_f64 v[171:172], v[175:176], s[10:11], v[171:172]
	v_add_f64 v[158:159], v[177:178], v[158:159]
	v_add_f64 v[150:151], v[171:172], v[150:151]
	v_fma_f64 v[171:172], v[181:182], s[2:3], v[229:230]
	v_mul_f64 v[177:178], v[211:212], s[36:37]
	v_fma_f64 v[181:182], v[193:194], s[10:11], -v[219:220]
	v_add_f64 v[144:145], v[171:172], v[144:145]
	v_fma_f64 v[171:172], v[169:170], s[20:21], -v[227:228]
	v_fma_f64 v[169:170], v[175:176], s[2:3], -v[231:232]
	v_fma_f64 v[201:202], v[197:198], s[24:25], v[177:178]
	v_fma_f64 v[177:178], v[197:198], s[24:25], -v[177:178]
	v_add_f64 v[160:161], v[171:172], v[160:161]
	v_mul_f64 v[171:172], v[189:190], s[36:37]
	v_add_f64 v[142:143], v[201:202], v[142:143]
	v_add_f64 v[164:165], v[177:178], v[164:165]
	;; [unrolled: 1-line block ×3, first 2 shown]
	v_fma_f64 v[179:180], v[183:184], s[24:25], -v[171:172]
	v_fma_f64 v[171:172], v[183:184], s[24:25], v[171:172]
	v_fma_f64 v[169:170], v[175:176], s[18:19], -v[185:186]
	v_fma_f64 v[175:176], v[205:206], s[10:11], v[217:218]
	v_fma_f64 v[183:184], v[191:192], s[20:21], -v[225:226]
	v_add_f64 v[154:155], v[154:155], v[160:161]
	v_fma_f64 v[160:161], v[197:198], s[2:3], v[213:214]
	v_add_f64 v[150:151], v[171:172], v[150:151]
	v_fma_f64 v[171:172], v[197:198], s[16:17], v[233:234]
	v_add_f64 v[146:147], v[169:170], v[146:147]
	v_mul_f64 v[169:170], v[209:210], s[28:29]
	v_add_f64 v[158:159], v[179:180], v[158:159]
	v_fma_f64 v[179:180], v[193:194], s[24:25], -v[239:240]
	v_add_f64 v[140:141], v[160:161], v[140:141]
	v_mul_f64 v[160:161], v[195:196], s[28:29]
	v_add_f64 v[144:145], v[171:172], v[144:145]
	v_add_f64 v[146:147], v[162:163], v[146:147]
	v_fma_f64 v[171:172], v[205:206], s[2:3], v[169:170]
	v_fma_f64 v[169:170], v[205:206], s[2:3], -v[169:170]
	v_add_f64 v[175:176], v[175:176], v[140:141]
	v_fma_f64 v[177:178], v[193:194], s[2:3], -v[160:161]
	v_fma_f64 v[160:161], v[193:194], s[2:3], v[160:161]
	v_add_f64 v[181:182], v[181:182], v[146:147]
	v_add_f64 v[162:163], v[171:172], v[142:143]
	v_mul_f64 v[142:143], v[207:208], s[26:27]
	v_add_f64 v[164:165], v[169:170], v[164:165]
	v_add_f64 v[169:170], v[173:174], v[144:145]
	;; [unrolled: 1-line block ×3, first 2 shown]
	v_fma_f64 v[144:145], v[203:204], s[18:19], v[148:149]
	v_fma_f64 v[148:149], v[203:204], s[18:19], -v[148:149]
	v_fma_f64 v[173:174], v[203:204], s[20:21], v[223:224]
	v_add_f64 v[158:159], v[177:178], v[158:159]
	v_add_f64 v[160:161], v[160:161], v[150:151]
	v_fma_f64 v[177:178], v[191:192], s[18:19], v[156:157]
	v_fma_f64 v[156:157], v[191:192], s[18:19], -v[156:157]
	v_fma_f64 v[150:151], v[203:204], s[10:11], -v[142:143]
	v_fma_f64 v[154:155], v[203:204], s[10:11], v[142:143]
	v_mul_f64 v[142:143], v[199:200], s[26:27]
	v_add_f64 v[146:147], v[144:145], v[162:163]
	v_add_f64 v[144:145], v[156:157], v[158:159]
	;; [unrolled: 1-line block ×4, first 2 shown]
	v_fma_f64 v[140:141], v[191:192], s[10:11], v[142:143]
	v_fma_f64 v[179:180], v[191:192], s[10:11], -v[142:143]
	v_add_f64 v[142:143], v[150:151], v[166:167]
	v_add_f64 v[150:151], v[148:149], v[164:165]
	;; [unrolled: 1-line block ×3, first 2 shown]
	buffer_load_dword v161, off, s[48:51], 0 offset:12 ; 4-byte Folded Reload
	v_add_f64 v[156:157], v[183:184], v[181:182]
	v_mov_b32_e32 v160, 4
	v_add_f64 v[140:141], v[140:141], v[152:153]
	v_add_f64 v[152:153], v[179:180], v[171:172]
	s_waitcnt vmcnt(0)
	v_lshlrev_b32_sdwa v160, v160, v161 dst_sel:DWORD dst_unused:UNUSED_PAD src0_sel:DWORD src1_sel:WORD_0
	ds_write_b128 v160, v[120:123]
	ds_write_b128 v160, v[128:131] offset:16
	ds_write_b128 v160, v[132:135] offset:32
	;; [unrolled: 1-line block ×12, first 2 shown]
.LBB0_17:
	s_or_b32 exec_lo, exec_lo, s1
	s_waitcnt lgkmcnt(0)
	s_barrier
	buffer_gl0_inv
	ds_read_b128 v[120:123], v255 offset:1664
	ds_read_b128 v[116:119], v255
	ds_read_b128 v[124:127], v255 offset:3328
	ds_read_b128 v[128:131], v255 offset:4992
	;; [unrolled: 1-line block ×9, first 2 shown]
	s_mov_b32 s8, 0xf8bb580b
	s_mov_b32 s10, 0x8764f0ba
	s_mov_b32 s9, 0xbfe14ced
	s_mov_b32 s11, 0x3feaeb8c
	s_mov_b32 s22, 0x43842ef
	s_mov_b32 s24, 0x640f44db
	s_mov_b32 s23, 0xbfefac9e
	s_mov_b32 s25, 0xbfc2375f
	s_mov_b32 s16, 0x8eee2c13
	s_waitcnt lgkmcnt(10)
	v_mul_f64 v[160:161], v[30:31], v[122:123]
	v_mul_f64 v[30:31], v[30:31], v[120:121]
	s_waitcnt lgkmcnt(8)
	v_mul_f64 v[164:165], v[18:19], v[126:127]
	v_mul_f64 v[18:19], v[18:19], v[124:125]
	;; [unrolled: 3-line block ×3, first 2 shown]
	s_mov_b32 s20, 0xd9c712b6
	s_waitcnt lgkmcnt(3)
	v_mul_f64 v[173:174], v[22:23], v[146:147]
	s_waitcnt lgkmcnt(2)
	v_mul_f64 v[166:167], v[26:27], v[150:151]
	v_mul_f64 v[26:27], v[26:27], v[148:149]
	s_waitcnt lgkmcnt(0)
	v_mul_f64 v[162:163], v[38:39], v[156:157]
	v_mul_f64 v[22:23], v[22:23], v[144:145]
	s_mov_b32 s26, 0xbb3a28a1
	s_mov_b32 s17, 0xbfed1bb4
	;; [unrolled: 1-line block ×10, first 2 shown]
	v_fma_f64 v[120:121], v[28:29], v[120:121], v[160:161]
	v_fma_f64 v[28:29], v[28:29], v[122:123], -v[30:31]
	v_mul_f64 v[30:31], v[38:39], v[158:159]
	v_mul_f64 v[38:39], v[34:35], v[154:155]
	;; [unrolled: 1-line block ×5, first 2 shown]
	v_fma_f64 v[124:125], v[16:17], v[124:125], v[164:165]
	v_fma_f64 v[16:17], v[16:17], v[126:127], -v[18:19]
	s_mov_b32 s39, 0xbfeeb42a
	v_fma_f64 v[2:3], v[36:37], v[158:159], -v[162:163]
	v_mul_f64 v[158:159], v[14:15], v[138:139]
	v_mul_f64 v[14:15], v[14:15], v[136:137]
	;; [unrolled: 1-line block ×4, first 2 shown]
	s_mov_b32 s2, s8
	s_mov_b32 s29, 0x3fefac9e
	;; [unrolled: 1-line block ×7, first 2 shown]
	v_add_f64 v[18:19], v[116:117], v[120:121]
	v_add_f64 v[126:127], v[118:119], v[28:29]
	v_fma_f64 v[6:7], v[36:37], v[156:157], v[30:31]
	v_fma_f64 v[30:31], v[32:33], v[152:153], v[38:39]
	v_fma_f64 v[32:33], v[32:33], v[154:155], -v[34:35]
	v_fma_f64 v[34:35], v[4:5], v[128:129], v[122:123]
	v_fma_f64 v[4:5], v[4:5], v[130:131], -v[160:161]
	;; [unrolled: 2-line block ×7, first 2 shown]
	v_add_f64 v[22:23], v[28:29], -v[2:3]
	v_add_f64 v[28:29], v[28:29], v[2:3]
	s_mov_b32 s37, 0x3fe82f19
	s_mov_b32 s36, s26
	v_add_f64 v[18:19], v[18:19], v[124:125]
	v_add_f64 v[126:127], v[126:127], v[16:17]
	;; [unrolled: 1-line block ×3, first 2 shown]
	v_add_f64 v[120:121], v[120:121], -v[6:7]
	v_add_f64 v[130:131], v[16:17], -v[32:33]
	v_add_f64 v[16:17], v[16:17], v[32:33]
	v_add_f64 v[128:129], v[124:125], v[30:31]
	;; [unrolled: 1-line block ×4, first 2 shown]
	v_add_f64 v[138:139], v[4:5], -v[24:25]
	v_add_f64 v[136:137], v[34:35], -v[36:37]
	;; [unrolled: 1-line block ×3, first 2 shown]
	v_add_f64 v[142:143], v[0:1], v[20:21]
	v_add_f64 v[144:145], v[0:1], -v[20:21]
	v_add_f64 v[140:141], v[26:27], v[38:39]
	s_barrier
	buffer_gl0_inv
	v_mul_f64 v[146:147], v[22:23], s[8:9]
	v_mul_f64 v[148:149], v[28:29], s[10:11]
	v_mul_f64 v[150:151], v[22:23], s[16:17]
	v_mul_f64 v[152:153], v[28:29], s[20:21]
	v_mul_f64 v[154:155], v[22:23], s[26:27]
	v_add_f64 v[18:19], v[18:19], v[34:35]
	v_add_f64 v[4:5], v[126:127], v[4:5]
	v_mul_f64 v[34:35], v[22:23], s[22:23]
	v_mul_f64 v[126:127], v[28:29], s[24:25]
	;; [unrolled: 1-line block ×15, first 2 shown]
	v_fma_f64 v[189:190], v[10:11], s[10:11], v[146:147]
	v_fma_f64 v[191:192], v[120:121], s[2:3], v[148:149]
	v_fma_f64 v[146:147], v[10:11], s[10:11], -v[146:147]
	v_fma_f64 v[148:149], v[120:121], s[8:9], v[148:149]
	v_fma_f64 v[193:194], v[10:11], s[20:21], v[150:151]
	v_add_f64 v[18:19], v[18:19], v[26:27]
	v_add_f64 v[0:1], v[4:5], v[0:1]
	v_fma_f64 v[197:198], v[10:11], s[24:25], v[34:35]
	v_fma_f64 v[199:200], v[120:121], s[28:29], v[126:127]
	v_fma_f64 v[34:35], v[10:11], s[24:25], -v[34:35]
	v_fma_f64 v[126:127], v[120:121], s[22:23], v[126:127]
	v_fma_f64 v[195:196], v[120:121], s[18:19], v[152:153]
	;; [unrolled: 1-line block ×4, first 2 shown]
	v_mul_f64 v[175:176], v[138:139], s[22:23]
	v_mul_f64 v[177:178], v[134:135], s[24:25]
	v_fma_f64 v[150:151], v[10:11], s[20:21], -v[150:151]
	v_fma_f64 v[203:204], v[120:121], s[36:37], v[156:157]
	v_fma_f64 v[154:155], v[10:11], s[30:31], -v[154:155]
	v_fma_f64 v[156:157], v[120:121], s[26:27], v[156:157]
	v_fma_f64 v[205:206], v[10:11], s[38:39], v[22:23]
	;; [unrolled: 1-line block ×3, first 2 shown]
	v_fma_f64 v[10:11], v[10:11], s[38:39], -v[22:23]
	v_fma_f64 v[22:23], v[120:121], s[34:35], v[28:29]
	v_fma_f64 v[28:29], v[128:129], s[20:21], v[158:159]
	;; [unrolled: 1-line block ×3, first 2 shown]
	v_add_f64 v[189:190], v[116:117], v[189:190]
	v_add_f64 v[18:19], v[18:19], v[122:123]
	v_add_f64 v[0:1], v[0:1], v[12:13]
	v_add_f64 v[191:192], v[118:119], v[191:192]
	v_mul_f64 v[4:5], v[138:139], s[18:19]
	v_mul_f64 v[183:184], v[134:135], s[20:21]
	v_fma_f64 v[213:214], v[128:129], s[38:39], v[166:167]
	v_fma_f64 v[215:216], v[124:125], s[34:35], v[169:170]
	v_fma_f64 v[166:167], v[128:129], s[38:39], -v[166:167]
	v_fma_f64 v[169:170], v[124:125], s[40:41], v[169:170]
	v_add_f64 v[34:35], v[116:117], v[34:35]
	v_add_f64 v[126:127], v[118:119], v[126:127]
	v_mul_f64 v[185:186], v[138:139], s[8:9]
	v_fma_f64 v[160:161], v[124:125], s[16:17], v[160:161]
	v_fma_f64 v[211:212], v[124:125], s[36:37], v[164:165]
	;; [unrolled: 1-line block ×4, first 2 shown]
	v_add_f64 v[152:153], v[118:119], v[152:153]
	v_mul_f64 v[179:180], v[138:139], s[40:41]
	v_mul_f64 v[187:188], v[134:135], s[10:11]
	v_fma_f64 v[158:159], v[128:129], s[20:21], -v[158:159]
	v_fma_f64 v[209:210], v[128:129], s[30:31], v[162:163]
	v_fma_f64 v[162:163], v[128:129], s[30:31], -v[162:163]
	v_add_f64 v[18:19], v[18:19], v[14:15]
	v_add_f64 v[0:1], v[0:1], v[8:9]
	v_fma_f64 v[219:220], v[124:125], s[22:23], v[173:174]
	v_fma_f64 v[171:172], v[128:129], s[24:25], -v[171:172]
	v_fma_f64 v[173:174], v[124:125], s[28:29], v[173:174]
	v_fma_f64 v[221:222], v[128:129], s[10:11], v[130:131]
	;; [unrolled: 1-line block ×3, first 2 shown]
	v_fma_f64 v[128:129], v[128:129], s[10:11], -v[130:131]
	v_fma_f64 v[16:17], v[124:125], s[2:3], v[16:17]
	v_fma_f64 v[124:125], v[132:133], s[24:25], v[175:176]
	;; [unrolled: 1-line block ×3, first 2 shown]
	v_add_f64 v[150:151], v[116:117], v[150:151]
	v_add_f64 v[154:155], v[116:117], v[154:155]
	;; [unrolled: 1-line block ×5, first 2 shown]
	v_mul_f64 v[181:182], v[134:135], s[38:39]
	v_mul_f64 v[138:139], v[138:139], s[26:27]
	v_fma_f64 v[229:230], v[132:133], s[20:21], v[4:5]
	v_fma_f64 v[231:232], v[136:137], s[16:17], v[183:184]
	v_fma_f64 v[4:5], v[132:133], s[20:21], -v[4:5]
	v_fma_f64 v[183:184], v[136:137], s[18:19], v[183:184]
	v_add_f64 v[18:19], v[18:19], v[38:39]
	v_add_f64 v[0:1], v[0:1], v[20:21]
	;; [unrolled: 1-line block ×15, first 2 shown]
	v_mul_f64 v[134:135], v[134:135], s[30:31]
	v_fma_f64 v[177:178], v[136:137], s[22:23], v[177:178]
	v_add_f64 v[26:27], v[26:27], -v[38:39]
	v_fma_f64 v[38:39], v[132:133], s[10:11], v[185:186]
	v_fma_f64 v[175:176], v[132:133], s[24:25], -v[175:176]
	v_fma_f64 v[225:226], v[132:133], s[38:39], v[179:180]
	v_add_f64 v[16:17], v[16:17], v[22:23]
	v_add_f64 v[18:19], v[18:19], v[36:37]
	;; [unrolled: 1-line block ×8, first 2 shown]
	v_mul_f64 v[124:125], v[144:145], s[28:29]
	v_add_f64 v[152:153], v[217:218], v[199:200]
	v_add_f64 v[158:159], v[219:220], v[201:202]
	v_fma_f64 v[227:228], v[136:137], s[34:35], v[181:182]
	v_add_f64 v[28:29], v[130:131], v[116:117]
	v_fma_f64 v[116:117], v[136:137], s[2:3], v[187:188]
	v_fma_f64 v[179:180], v[132:133], s[38:39], -v[179:180]
	v_add_f64 v[205:206], v[118:119], v[207:208]
	v_add_f64 v[118:119], v[211:212], v[193:194]
	;; [unrolled: 1-line block ×4, first 2 shown]
	v_mul_f64 v[128:129], v[142:143], s[24:25]
	v_fma_f64 v[181:182], v[136:137], s[40:41], v[181:182]
	v_add_f64 v[154:155], v[171:172], v[154:155]
	v_add_f64 v[156:157], v[173:174], v[156:157]
	;; [unrolled: 1-line block ×4, first 2 shown]
	v_mul_f64 v[32:33], v[142:143], s[30:31]
	v_mul_f64 v[30:31], v[144:145], s[26:27]
	v_fma_f64 v[130:131], v[132:133], s[10:11], -v[185:186]
	v_fma_f64 v[164:165], v[136:137], s[8:9], v[187:188]
	v_add_f64 v[4:5], v[4:5], v[34:35]
	v_add_f64 v[34:35], v[183:184], v[126:127]
	v_fma_f64 v[126:127], v[132:133], s[30:31], -v[138:139]
	v_add_f64 v[148:149], v[213:214], v[195:196]
	v_fma_f64 v[166:167], v[132:133], s[30:31], v[138:139]
	v_mul_f64 v[138:139], v[144:145], s[8:9]
	v_add_f64 v[150:151], v[215:216], v[197:198]
	v_add_f64 v[24:25], v[177:178], v[24:25]
	v_fma_f64 v[169:170], v[136:137], s[36:37], v[134:135]
	v_fma_f64 v[132:133], v[136:137], s[26:27], v[134:135]
	v_add_f64 v[38:39], v[38:39], v[152:153]
	v_mul_f64 v[152:153], v[142:143], s[10:11]
	v_add_f64 v[20:21], v[175:176], v[20:21]
	v_add_f64 v[36:37], v[225:226], v[36:37]
	v_add_f64 v[116:117], v[116:117], v[158:159]
	v_fma_f64 v[158:159], v[140:141], s[24:25], v[124:125]
	v_add_f64 v[118:119], v[227:228], v[118:119]
	v_add_f64 v[120:121], v[179:180], v[120:121]
	v_fma_f64 v[136:137], v[26:27], s[36:37], v[32:33]
	v_fma_f64 v[32:33], v[26:27], s[26:27], v[32:33]
	;; [unrolled: 1-line block ×3, first 2 shown]
	v_fma_f64 v[30:31], v[140:141], s[30:31], -v[30:31]
	v_fma_f64 v[171:172], v[26:27], s[22:23], v[128:129]
	v_fma_f64 v[124:125], v[140:141], s[24:25], -v[124:125]
	v_add_f64 v[146:147], v[181:182], v[146:147]
	v_add_f64 v[130:131], v[130:131], v[154:155]
	v_fma_f64 v[128:129], v[26:27], s[28:29], v[128:129]
	v_add_f64 v[154:155], v[164:165], v[156:157]
	v_mul_f64 v[156:157], v[144:145], s[34:35]
	v_mul_f64 v[164:165], v[142:143], s[38:39]
	;; [unrolled: 1-line block ×4, first 2 shown]
	v_add_f64 v[10:11], v[126:127], v[10:11]
	v_add_f64 v[126:127], v[12:13], -v[8:9]
	v_add_f64 v[8:9], v[12:13], v[8:9]
	v_add_f64 v[148:149], v[229:230], v[148:149]
	v_fma_f64 v[12:13], v[140:141], s[10:11], v[138:139]
	v_add_f64 v[162:163], v[223:224], v[205:206]
	v_add_f64 v[150:151], v[231:232], v[150:151]
	;; [unrolled: 1-line block ×5, first 2 shown]
	v_fma_f64 v[24:25], v[26:27], s[2:3], v[152:153]
	v_add_f64 v[20:21], v[30:31], v[20:21]
	v_add_f64 v[30:31], v[158:159], v[36:37]
	v_fma_f64 v[36:37], v[140:141], s[10:11], -v[138:139]
	v_add_f64 v[32:33], v[171:172], v[118:119]
	v_add_f64 v[118:119], v[124:125], v[120:121]
	v_fma_f64 v[124:125], v[26:27], s[8:9], v[152:153]
	v_add_f64 v[22:23], v[134:135], v[22:23]
	v_add_f64 v[28:29], v[136:137], v[28:29]
	;; [unrolled: 1-line block ×3, first 2 shown]
	v_fma_f64 v[128:129], v[140:141], s[38:39], v[156:157]
	v_fma_f64 v[134:135], v[26:27], s[40:41], v[164:165]
	v_fma_f64 v[136:137], v[140:141], s[38:39], -v[156:157]
	v_fma_f64 v[138:139], v[26:27], s[34:35], v[164:165]
	v_fma_f64 v[146:147], v[140:141], s[20:21], v[144:145]
	;; [unrolled: 1-line block ×3, first 2 shown]
	v_fma_f64 v[140:141], v[140:141], s[20:21], -v[144:145]
	v_fma_f64 v[26:27], v[26:27], s[18:19], v[142:143]
	v_add_f64 v[142:143], v[122:123], v[14:15]
	v_add_f64 v[14:15], v[122:123], -v[14:15]
	v_mul_f64 v[122:123], v[126:127], s[34:35]
	v_mul_f64 v[144:145], v[8:9], s[38:39]
	v_add_f64 v[148:149], v[12:13], v[148:149]
	v_mul_f64 v[12:13], v[126:127], s[2:3]
	v_mul_f64 v[156:157], v[8:9], s[10:11]
	v_add_f64 v[162:163], v[169:170], v[162:163]
	v_add_f64 v[150:151], v[24:25], v[150:151]
	v_mul_f64 v[24:25], v[126:127], s[26:27]
	v_mul_f64 v[158:159], v[8:9], s[30:31]
	v_add_f64 v[36:37], v[36:37], v[4:5]
	v_mul_f64 v[4:5], v[126:127], s[18:19]
	v_mul_f64 v[164:165], v[8:9], s[20:21]
	v_add_f64 v[160:161], v[166:167], v[160:161]
	v_add_f64 v[124:125], v[124:125], v[34:35]
	v_mul_f64 v[34:35], v[126:127], s[22:23]
	v_mul_f64 v[8:9], v[8:9], s[24:25]
	v_add_f64 v[126:127], v[136:137], v[130:131]
	v_add_f64 v[38:39], v[128:129], v[38:39]
	;; [unrolled: 1-line block ×6, first 2 shown]
	v_fma_f64 v[16:17], v[142:143], s[38:39], v[122:123]
	v_fma_f64 v[26:27], v[14:15], s[40:41], v[144:145]
	v_fma_f64 v[122:123], v[142:143], s[38:39], -v[122:123]
	v_fma_f64 v[138:139], v[142:143], s[10:11], v[12:13]
	v_fma_f64 v[140:141], v[14:15], s[8:9], v[156:157]
	v_add_f64 v[134:135], v[152:153], v[162:163]
	v_fma_f64 v[156:157], v[14:15], s[2:3], v[156:157]
	v_fma_f64 v[152:153], v[142:143], s[30:31], v[24:25]
	;; [unrolled: 1-line block ×6, first 2 shown]
	v_add_f64 v[130:131], v[146:147], v[160:161]
	v_fma_f64 v[160:161], v[142:143], s[30:31], -v[24:25]
	v_fma_f64 v[171:172], v[142:143], s[24:25], v[34:35]
	v_fma_f64 v[173:174], v[14:15], s[28:29], v[8:9]
	v_fma_f64 v[146:147], v[142:143], s[10:11], -v[12:13]
	v_fma_f64 v[169:170], v[142:143], s[20:21], -v[4:5]
	;; [unrolled: 1-line block ×3, first 2 shown]
	v_fma_f64 v[142:143], v[14:15], s[22:23], v[8:9]
	v_fma_f64 v[164:165], v[14:15], s[18:19], v[164:165]
	;; [unrolled: 1-line block ×3, first 2 shown]
	v_add_f64 v[12:13], v[18:19], v[6:7]
	v_add_f64 v[14:15], v[0:1], v[2:3]
	;; [unrolled: 1-line block ×22, first 2 shown]
	ds_write_b128 v168, v[12:15]
	ds_write_b128 v168, v[16:19] offset:208
	ds_write_b128 v168, v[20:23] offset:416
	;; [unrolled: 1-line block ×10, first 2 shown]
	s_waitcnt lgkmcnt(0)
	s_barrier
	buffer_gl0_inv
	ds_read_b128 v[12:15], v255
	ds_read_b128 v[116:119], v255 offset:2288
	ds_read_b128 v[28:31], v255 offset:4576
	;; [unrolled: 1-line block ×7, first 2 shown]
	s_and_saveexec_b32 s1, s0
	s_cbranch_execz .LBB0_19
; %bb.18:
	ds_read_b128 v[0:3], v255 offset:1664
	ds_read_b128 v[4:7], v255 offset:3952
	;; [unrolled: 1-line block ×8, first 2 shown]
.LBB0_19:
	s_or_b32 exec_lo, exec_lo, s1
	s_waitcnt lgkmcnt(6)
	v_mul_f64 v[120:121], v[78:79], v[118:119]
	v_mul_f64 v[78:79], v[78:79], v[116:117]
	s_waitcnt lgkmcnt(5)
	v_mul_f64 v[122:123], v[82:83], v[30:31]
	v_mul_f64 v[82:83], v[82:83], v[28:29]
	s_waitcnt lgkmcnt(3)
	v_mul_f64 v[124:125], v[74:75], v[34:35]
	v_mul_f64 v[74:75], v[74:75], v[32:33]
	s_waitcnt lgkmcnt(1)
	v_mul_f64 v[126:127], v[94:95], v[38:39]
	v_mul_f64 v[94:95], v[94:95], v[36:37]
	v_mul_f64 v[128:129], v[86:87], v[26:27]
	v_mul_f64 v[86:87], v[86:87], v[24:25]
	;; [unrolled: 1-line block ×4, first 2 shown]
	s_waitcnt lgkmcnt(0)
	v_mul_f64 v[132:133], v[90:91], v[22:23]
	v_mul_f64 v[90:91], v[90:91], v[20:21]
	s_mov_b32 s2, 0x667f3bcd
	s_mov_b32 s3, 0xbfe6a09e
	;; [unrolled: 1-line block ×4, first 2 shown]
	v_fma_f64 v[116:117], v[76:77], v[116:117], v[120:121]
	v_fma_f64 v[76:77], v[76:77], v[118:119], -v[78:79]
	v_fma_f64 v[28:29], v[80:81], v[28:29], v[122:123]
	v_fma_f64 v[30:31], v[80:81], v[30:31], -v[82:83]
	v_fma_f64 v[32:33], v[72:73], v[32:33], v[124:125]
	v_fma_f64 v[34:35], v[72:73], v[34:35], -v[74:75]
	v_fma_f64 v[36:37], v[92:93], v[36:37], v[126:127]
	v_fma_f64 v[38:39], v[92:93], v[38:39], -v[94:95]
	v_fma_f64 v[24:25], v[84:85], v[24:25], v[128:129]
	v_fma_f64 v[26:27], v[84:85], v[26:27], -v[86:87]
	v_fma_f64 v[16:17], v[68:69], v[16:17], v[130:131]
	v_fma_f64 v[18:19], v[68:69], v[18:19], -v[70:71]
	v_fma_f64 v[20:21], v[88:89], v[20:21], v[132:133]
	v_fma_f64 v[22:23], v[88:89], v[22:23], -v[90:91]
	v_add_f64 v[32:33], v[12:13], -v[32:33]
	v_add_f64 v[34:35], v[14:15], -v[34:35]
	;; [unrolled: 1-line block ×8, first 2 shown]
	v_fma_f64 v[12:13], v[12:13], 2.0, -v[32:33]
	v_fma_f64 v[14:15], v[14:15], 2.0, -v[34:35]
	;; [unrolled: 1-line block ×6, first 2 shown]
	v_add_f64 v[38:39], v[32:33], v[38:39]
	v_add_f64 v[36:37], v[34:35], -v[36:37]
	v_fma_f64 v[16:17], v[16:17], 2.0, -v[20:21]
	v_fma_f64 v[18:19], v[18:19], 2.0, -v[22:23]
	v_add_f64 v[22:23], v[24:25], v[22:23]
	v_add_f64 v[20:21], v[26:27], -v[20:21]
	v_add_f64 v[28:29], v[12:13], -v[28:29]
	;; [unrolled: 1-line block ×3, first 2 shown]
	v_fma_f64 v[72:73], v[32:33], 2.0, -v[38:39]
	v_fma_f64 v[74:75], v[34:35], 2.0, -v[36:37]
	v_add_f64 v[16:17], v[68:69], -v[16:17]
	v_add_f64 v[18:19], v[70:71], -v[18:19]
	v_fma_f64 v[32:33], v[24:25], 2.0, -v[22:23]
	v_fma_f64 v[24:25], v[26:27], 2.0, -v[20:21]
	v_fma_f64 v[26:27], v[22:23], s[8:9], v[38:39]
	v_fma_f64 v[34:35], v[20:21], s[8:9], v[36:37]
	v_fma_f64 v[76:77], v[12:13], 2.0, -v[28:29]
	v_fma_f64 v[78:79], v[14:15], 2.0, -v[30:31]
	;; [unrolled: 1-line block ×4, first 2 shown]
	v_fma_f64 v[80:81], v[32:33], s[2:3], v[72:73]
	v_fma_f64 v[82:83], v[24:25], s[2:3], v[74:75]
	v_add_f64 v[12:13], v[28:29], v[18:19]
	v_add_f64 v[14:15], v[30:31], -v[16:17]
	v_fma_f64 v[16:17], v[20:21], s[8:9], v[26:27]
	v_fma_f64 v[18:19], v[22:23], s[2:3], v[34:35]
	v_add_f64 v[20:21], v[76:77], -v[68:69]
	v_add_f64 v[22:23], v[78:79], -v[70:71]
	v_fma_f64 v[24:25], v[24:25], s[8:9], v[80:81]
	v_fma_f64 v[26:27], v[32:33], s[2:3], v[82:83]
	v_fma_f64 v[28:29], v[28:29], 2.0, -v[12:13]
	v_fma_f64 v[30:31], v[30:31], 2.0, -v[14:15]
	;; [unrolled: 1-line block ×8, first 2 shown]
	ds_write_b128 v255, v[12:15] offset:13728
	ds_write_b128 v255, v[28:31] offset:4576
	;; [unrolled: 1-line block ×5, first 2 shown]
	ds_write_b128 v255, v[36:39]
	ds_write_b128 v255, v[68:71] offset:2288
	ds_write_b128 v255, v[16:19] offset:16016
	s_and_saveexec_b32 s1, s0
	s_cbranch_execz .LBB0_21
; %bb.20:
	v_mul_f64 v[12:13], v[54:55], v[108:109]
	v_mul_f64 v[14:15], v[50:51], v[10:11]
	;; [unrolled: 1-line block ×14, first 2 shown]
	v_fma_f64 v[12:13], v[52:53], v[110:111], -v[12:13]
	v_fma_f64 v[8:9], v[48:49], v[8:9], v[14:15]
	v_fma_f64 v[14:15], v[64:65], v[100:101], v[16:17]
	v_fma_f64 v[6:7], v[40:41], v[6:7], -v[18:19]
	v_fma_f64 v[16:17], v[56:57], v[98:99], -v[20:21]
	v_fma_f64 v[18:19], v[44:45], v[112:113], v[22:23]
	v_fma_f64 v[20:21], v[60:61], v[104:105], v[24:25]
	;; [unrolled: 1-line block ×3, first 2 shown]
	v_fma_f64 v[10:11], v[48:49], v[10:11], -v[28:29]
	v_fma_f64 v[22:23], v[64:65], v[102:103], -v[30:31]
	v_fma_f64 v[24:25], v[56:57], v[96:97], v[32:33]
	v_fma_f64 v[26:27], v[52:53], v[108:109], v[34:35]
	v_fma_f64 v[28:29], v[44:45], v[114:115], -v[36:37]
	v_fma_f64 v[30:31], v[60:61], v[106:107], -v[38:39]
	v_add_f64 v[12:13], v[2:3], -v[12:13]
	v_add_f64 v[14:15], v[8:9], -v[14:15]
	;; [unrolled: 1-line block ×8, first 2 shown]
	v_fma_f64 v[2:3], v[2:3], 2.0, -v[12:13]
	v_add_f64 v[32:33], v[12:13], -v[14:15]
	v_fma_f64 v[8:9], v[8:9], 2.0, -v[14:15]
	v_fma_f64 v[6:7], v[6:7], 2.0, -v[16:17]
	v_add_f64 v[34:35], v[16:17], -v[20:21]
	v_fma_f64 v[18:19], v[18:19], 2.0, -v[20:21]
	v_fma_f64 v[10:11], v[10:11], 2.0, -v[22:23]
	;; [unrolled: 1-line block ×5, first 2 shown]
	v_add_f64 v[14:15], v[30:31], v[24:25]
	v_add_f64 v[28:29], v[22:23], v[26:27]
	v_fma_f64 v[30:31], v[12:13], 2.0, -v[32:33]
	v_fma_f64 v[16:17], v[16:17], 2.0, -v[34:35]
	v_add_f64 v[22:23], v[2:3], -v[10:11]
	v_add_f64 v[10:11], v[4:5], -v[18:19]
	v_fma_f64 v[18:19], v[34:35], s[8:9], v[32:33]
	v_add_f64 v[12:13], v[6:7], -v[20:21]
	v_add_f64 v[20:21], v[0:1], -v[8:9]
	v_fma_f64 v[8:9], v[24:25], 2.0, -v[14:15]
	v_fma_f64 v[24:25], v[26:27], 2.0, -v[28:29]
	v_fma_f64 v[26:27], v[14:15], s[8:9], v[28:29]
	v_fma_f64 v[36:37], v[16:17], s[2:3], v[30:31]
	v_fma_f64 v[38:39], v[2:3], 2.0, -v[22:23]
	v_fma_f64 v[44:45], v[4:5], 2.0, -v[10:11]
	v_fma_f64 v[2:3], v[14:15], s[2:3], v[18:19]
	v_fma_f64 v[40:41], v[6:7], 2.0, -v[12:13]
	v_fma_f64 v[42:43], v[0:1], 2.0, -v[20:21]
	v_add_f64 v[6:7], v[22:23], -v[10:11]
	v_fma_f64 v[46:47], v[8:9], s[2:3], v[24:25]
	v_add_f64 v[4:5], v[20:21], v[12:13]
	v_fma_f64 v[0:1], v[34:35], s[8:9], v[26:27]
	v_fma_f64 v[10:11], v[8:9], s[2:3], v[36:37]
	v_fma_f64 v[18:19], v[32:33], 2.0, -v[2:3]
	v_add_f64 v[14:15], v[38:39], -v[40:41]
	v_add_f64 v[12:13], v[42:43], -v[44:45]
	v_fma_f64 v[22:23], v[22:23], 2.0, -v[6:7]
	v_fma_f64 v[8:9], v[16:17], s[8:9], v[46:47]
	v_fma_f64 v[20:21], v[20:21], 2.0, -v[4:5]
	v_fma_f64 v[16:17], v[28:29], 2.0, -v[0:1]
	v_fma_f64 v[26:27], v[30:31], 2.0, -v[10:11]
	v_fma_f64 v[30:31], v[38:39], 2.0, -v[14:15]
	v_fma_f64 v[28:29], v[42:43], 2.0, -v[12:13]
	v_fma_f64 v[24:25], v[24:25], 2.0, -v[8:9]
	ds_write_b128 v255, v[4:7] offset:15392
	ds_write_b128 v255, v[20:23] offset:6240
	;; [unrolled: 1-line block ×8, first 2 shown]
.LBB0_21:
	s_or_b32 exec_lo, exec_lo, s1
	s_waitcnt lgkmcnt(0)
	s_barrier
	buffer_gl0_inv
	s_and_b32 exec_lo, exec_lo, vcc_lo
	s_cbranch_execz .LBB0_23
; %bb.22:
	v_add_co_u32 v0, s0, s14, v255
	v_add_co_ci_u32_e64 v1, null, s15, 0, s0
	s_mul_i32 s0, s5, 0x580
	v_add_co_u32 v10, vcc_lo, 0x800, v0
	v_add_co_ci_u32_e32 v11, vcc_lo, 0, v1, vcc_lo
	v_add_co_u32 v18, vcc_lo, 0x1000, v0
	v_add_co_ci_u32_e32 v19, vcc_lo, 0, v1, vcc_lo
	v_add_co_u32 v22, vcc_lo, 0x1800, v0
	v_add_co_ci_u32_e32 v23, vcc_lo, 0, v1, vcc_lo
	v_add_co_u32 v30, vcc_lo, 0x2000, v0
	v_add_co_ci_u32_e32 v31, vcc_lo, 0, v1, vcc_lo
	v_add_co_u32 v34, vcc_lo, 0x2800, v0
	v_add_co_ci_u32_e32 v35, vcc_lo, 0, v1, vcc_lo
	v_add_co_u32 v42, vcc_lo, 0x3000, v0
	v_add_co_ci_u32_e32 v43, vcc_lo, 0, v1, vcc_lo
	v_add_co_u32 v46, vcc_lo, 0x3800, v0
	v_add_co_ci_u32_e32 v47, vcc_lo, 0, v1, vcc_lo
	s_clause 0xb
	global_load_dwordx4 v[2:5], v255, s[14:15]
	global_load_dwordx4 v[6:9], v255, s[14:15] offset:1408
	global_load_dwordx4 v[10:13], v[10:11], off offset:768
	global_load_dwordx4 v[14:17], v[18:19], off offset:128
	;; [unrolled: 1-line block ×10, first 2 shown]
	s_clause 0x2
	buffer_load_dword v50, off, s[48:51], 0 offset:4
	buffer_load_dword v51, off, s[48:51], 0 offset:8
	buffer_load_dword v56, off, s[48:51], 0
	s_mul_hi_u32 s1, s4, 0x580
	s_mul_i32 s2, s4, 0x580
	s_add_i32 s3, s1, s0
	s_mov_b32 s0, 0x55ee191
	s_mov_b32 s1, 0x3f4ca4b3
	s_waitcnt vmcnt(2)
	v_mov_b32_e32 v54, v50
	s_waitcnt vmcnt(0)
	v_mad_u64_u32 v[52:53], null, s4, v56, 0
	v_mad_u64_u32 v[50:51], null, s6, v54, 0
	;; [unrolled: 1-line block ×4, first 2 shown]
	v_mov_b32_e32 v51, v54
	v_lshlrev_b64 v[50:51], 4, v[50:51]
	v_mov_b32_e32 v53, v55
	v_lshlrev_b64 v[52:53], 4, v[52:53]
	v_add_co_u32 v50, vcc_lo, s12, v50
	v_add_co_ci_u32_e32 v51, vcc_lo, s13, v51, vcc_lo
	v_add_co_u32 v102, vcc_lo, v50, v52
	v_add_co_ci_u32_e32 v103, vcc_lo, v51, v53, vcc_lo
	ds_read_b128 v[50:53], v255
	ds_read_b128 v[54:57], v255 offset:1408
	ds_read_b128 v[58:61], v255 offset:2816
	;; [unrolled: 1-line block ×11, first 2 shown]
	v_add_co_u32 v104, vcc_lo, v102, s2
	v_add_co_ci_u32_e32 v105, vcc_lo, s3, v103, vcc_lo
	ds_read_b128 v[98:101], v255 offset:16896
	v_add_co_u32 v106, vcc_lo, v104, s2
	v_add_co_ci_u32_e32 v107, vcc_lo, s3, v105, vcc_lo
	v_add_co_u32 v108, vcc_lo, v106, s2
	v_add_co_ci_u32_e32 v109, vcc_lo, s3, v107, vcc_lo
	s_waitcnt lgkmcnt(12)
	v_mul_f64 v[122:123], v[52:53], v[4:5]
	v_mul_f64 v[4:5], v[50:51], v[4:5]
	s_waitcnt lgkmcnt(11)
	v_mul_f64 v[124:125], v[56:57], v[8:9]
	v_mul_f64 v[8:9], v[54:55], v[8:9]
	;; [unrolled: 3-line block ×12, first 2 shown]
	v_fma_f64 v[50:51], v[50:51], v[2:3], v[122:123]
	v_fma_f64 v[4:5], v[2:3], v[52:53], -v[4:5]
	v_fma_f64 v[52:53], v[54:55], v[6:7], v[124:125]
	v_fma_f64 v[8:9], v[6:7], v[56:57], -v[8:9]
	v_fma_f64 v[54:55], v[58:59], v[10:11], v[126:127]
	v_fma_f64 v[12:13], v[10:11], v[60:61], -v[12:13]
	v_fma_f64 v[56:57], v[62:63], v[14:15], v[128:129]
	v_fma_f64 v[16:17], v[14:15], v[64:65], -v[16:17]
	v_fma_f64 v[58:59], v[66:67], v[18:19], v[130:131]
	v_fma_f64 v[20:21], v[18:19], v[68:69], -v[20:21]
	v_add_co_u32 v110, vcc_lo, v108, s2
	v_fma_f64 v[60:61], v[70:71], v[22:23], v[132:133]
	v_fma_f64 v[24:25], v[22:23], v[72:73], -v[24:25]
	v_fma_f64 v[62:63], v[74:75], v[26:27], v[134:135]
	v_fma_f64 v[28:29], v[26:27], v[76:77], -v[28:29]
	v_add_co_ci_u32_e32 v111, vcc_lo, s3, v109, vcc_lo
	v_fma_f64 v[64:65], v[78:79], v[30:31], v[136:137]
	v_fma_f64 v[32:33], v[30:31], v[80:81], -v[32:33]
	v_fma_f64 v[66:67], v[82:83], v[34:35], v[138:139]
	v_fma_f64 v[36:37], v[34:35], v[84:85], -v[36:37]
	;; [unrolled: 2-line block ×3, first 2 shown]
	v_add_co_u32 v112, vcc_lo, v110, s2
	v_fma_f64 v[70:71], v[90:91], v[42:43], v[142:143]
	v_fma_f64 v[44:45], v[42:43], v[92:93], -v[44:45]
	v_fma_f64 v[72:73], v[94:95], v[46:47], v[144:145]
	v_fma_f64 v[48:49], v[46:47], v[96:97], -v[48:49]
	v_add_co_ci_u32_e32 v113, vcc_lo, s3, v111, vcc_lo
	v_add_co_u32 v114, vcc_lo, v112, s2
	v_mul_f64 v[2:3], v[50:51], s[0:1]
	v_add_co_ci_u32_e32 v115, vcc_lo, s3, v113, vcc_lo
	v_add_co_u32 v116, vcc_lo, v114, s2
	v_mul_f64 v[4:5], v[4:5], s[0:1]
	v_add_co_ci_u32_e32 v117, vcc_lo, s3, v115, vcc_lo
	v_mul_f64 v[6:7], v[52:53], s[0:1]
	v_mul_f64 v[8:9], v[8:9], s[0:1]
	;; [unrolled: 1-line block ×4, first 2 shown]
	v_add_co_u32 v118, vcc_lo, v116, s2
	v_mul_f64 v[14:15], v[56:57], s[0:1]
	v_mul_f64 v[16:17], v[16:17], s[0:1]
	;; [unrolled: 1-line block ×4, first 2 shown]
	v_add_co_ci_u32_e32 v119, vcc_lo, s3, v117, vcc_lo
	v_mul_f64 v[22:23], v[60:61], s[0:1]
	v_mul_f64 v[24:25], v[24:25], s[0:1]
	;; [unrolled: 1-line block ×6, first 2 shown]
	v_add_co_u32 v120, vcc_lo, v118, s2
	v_mul_f64 v[34:35], v[66:67], s[0:1]
	v_mul_f64 v[36:37], v[36:37], s[0:1]
	;; [unrolled: 1-line block ×4, first 2 shown]
	v_add_co_ci_u32_e32 v121, vcc_lo, s3, v119, vcc_lo
	v_mul_f64 v[42:43], v[70:71], s[0:1]
	v_mul_f64 v[44:45], v[44:45], s[0:1]
	;; [unrolled: 1-line block ×4, first 2 shown]
	v_add_co_u32 v50, vcc_lo, v120, s2
	v_add_co_ci_u32_e32 v51, vcc_lo, s3, v121, vcc_lo
	v_add_co_u32 v0, vcc_lo, 0x4000, v0
	v_add_co_ci_u32_e32 v1, vcc_lo, 0, v1, vcc_lo
	;; [unrolled: 2-line block ×3, first 2 shown]
	global_store_dwordx4 v[102:103], v[2:5], off
	global_store_dwordx4 v[104:105], v[6:9], off
	;; [unrolled: 1-line block ×12, first 2 shown]
	global_load_dwordx4 v[0:3], v[0:1], off offset:512
	s_waitcnt vmcnt(0) lgkmcnt(0)
	v_mul_f64 v[4:5], v[100:101], v[2:3]
	v_mul_f64 v[2:3], v[98:99], v[2:3]
	v_fma_f64 v[4:5], v[98:99], v[0:1], v[4:5]
	v_fma_f64 v[2:3], v[0:1], v[100:101], -v[2:3]
	v_mul_f64 v[0:1], v[4:5], s[0:1]
	v_mul_f64 v[2:3], v[2:3], s[0:1]
	v_add_co_u32 v4, vcc_lo, v52, s2
	v_add_co_ci_u32_e32 v5, vcc_lo, s3, v53, vcc_lo
	global_store_dwordx4 v[4:5], v[0:3], off
.LBB0_23:
	s_endpgm
	.section	.rodata,"a",@progbits
	.p2align	6, 0x0
	.amdhsa_kernel bluestein_single_back_len1144_dim1_dp_op_CI_CI
		.amdhsa_group_segment_fixed_size 18304
		.amdhsa_private_segment_fixed_size 68
		.amdhsa_kernarg_size 104
		.amdhsa_user_sgpr_count 6
		.amdhsa_user_sgpr_private_segment_buffer 1
		.amdhsa_user_sgpr_dispatch_ptr 0
		.amdhsa_user_sgpr_queue_ptr 0
		.amdhsa_user_sgpr_kernarg_segment_ptr 1
		.amdhsa_user_sgpr_dispatch_id 0
		.amdhsa_user_sgpr_flat_scratch_init 0
		.amdhsa_user_sgpr_private_segment_size 0
		.amdhsa_wavefront_size32 1
		.amdhsa_uses_dynamic_stack 0
		.amdhsa_system_sgpr_private_segment_wavefront_offset 1
		.amdhsa_system_sgpr_workgroup_id_x 1
		.amdhsa_system_sgpr_workgroup_id_y 0
		.amdhsa_system_sgpr_workgroup_id_z 0
		.amdhsa_system_sgpr_workgroup_info 0
		.amdhsa_system_vgpr_workitem_id 0
		.amdhsa_next_free_vgpr 256
		.amdhsa_next_free_sgpr 52
		.amdhsa_reserve_vcc 1
		.amdhsa_reserve_flat_scratch 0
		.amdhsa_float_round_mode_32 0
		.amdhsa_float_round_mode_16_64 0
		.amdhsa_float_denorm_mode_32 3
		.amdhsa_float_denorm_mode_16_64 3
		.amdhsa_dx10_clamp 1
		.amdhsa_ieee_mode 1
		.amdhsa_fp16_overflow 0
		.amdhsa_workgroup_processor_mode 1
		.amdhsa_memory_ordered 1
		.amdhsa_forward_progress 0
		.amdhsa_shared_vgpr_count 0
		.amdhsa_exception_fp_ieee_invalid_op 0
		.amdhsa_exception_fp_denorm_src 0
		.amdhsa_exception_fp_ieee_div_zero 0
		.amdhsa_exception_fp_ieee_overflow 0
		.amdhsa_exception_fp_ieee_underflow 0
		.amdhsa_exception_fp_ieee_inexact 0
		.amdhsa_exception_int_div_zero 0
	.end_amdhsa_kernel
	.text
.Lfunc_end0:
	.size	bluestein_single_back_len1144_dim1_dp_op_CI_CI, .Lfunc_end0-bluestein_single_back_len1144_dim1_dp_op_CI_CI
                                        ; -- End function
	.section	.AMDGPU.csdata,"",@progbits
; Kernel info:
; codeLenInByte = 22268
; NumSgprs: 54
; NumVgprs: 256
; ScratchSize: 68
; MemoryBound: 0
; FloatMode: 240
; IeeeMode: 1
; LDSByteSize: 18304 bytes/workgroup (compile time only)
; SGPRBlocks: 6
; VGPRBlocks: 31
; NumSGPRsForWavesPerEU: 54
; NumVGPRsForWavesPerEU: 256
; Occupancy: 4
; WaveLimiterHint : 1
; COMPUTE_PGM_RSRC2:SCRATCH_EN: 1
; COMPUTE_PGM_RSRC2:USER_SGPR: 6
; COMPUTE_PGM_RSRC2:TRAP_HANDLER: 0
; COMPUTE_PGM_RSRC2:TGID_X_EN: 1
; COMPUTE_PGM_RSRC2:TGID_Y_EN: 0
; COMPUTE_PGM_RSRC2:TGID_Z_EN: 0
; COMPUTE_PGM_RSRC2:TIDIG_COMP_CNT: 0
	.text
	.p2alignl 6, 3214868480
	.fill 48, 4, 3214868480
	.type	__hip_cuid_e954e211b5966400,@object ; @__hip_cuid_e954e211b5966400
	.section	.bss,"aw",@nobits
	.globl	__hip_cuid_e954e211b5966400
__hip_cuid_e954e211b5966400:
	.byte	0                               ; 0x0
	.size	__hip_cuid_e954e211b5966400, 1

	.ident	"AMD clang version 19.0.0git (https://github.com/RadeonOpenCompute/llvm-project roc-6.4.0 25133 c7fe45cf4b819c5991fe208aaa96edf142730f1d)"
	.section	".note.GNU-stack","",@progbits
	.addrsig
	.addrsig_sym __hip_cuid_e954e211b5966400
	.amdgpu_metadata
---
amdhsa.kernels:
  - .args:
      - .actual_access:  read_only
        .address_space:  global
        .offset:         0
        .size:           8
        .value_kind:     global_buffer
      - .actual_access:  read_only
        .address_space:  global
        .offset:         8
        .size:           8
        .value_kind:     global_buffer
      - .actual_access:  read_only
        .address_space:  global
        .offset:         16
        .size:           8
        .value_kind:     global_buffer
      - .actual_access:  read_only
        .address_space:  global
        .offset:         24
        .size:           8
        .value_kind:     global_buffer
      - .actual_access:  read_only
        .address_space:  global
        .offset:         32
        .size:           8
        .value_kind:     global_buffer
      - .offset:         40
        .size:           8
        .value_kind:     by_value
      - .address_space:  global
        .offset:         48
        .size:           8
        .value_kind:     global_buffer
      - .address_space:  global
        .offset:         56
        .size:           8
        .value_kind:     global_buffer
      - .address_space:  global
        .offset:         64
        .size:           8
        .value_kind:     global_buffer
      - .address_space:  global
        .offset:         72
        .size:           8
        .value_kind:     global_buffer
      - .offset:         80
        .size:           4
        .value_kind:     by_value
      - .address_space:  global
        .offset:         88
        .size:           8
        .value_kind:     global_buffer
      - .address_space:  global
        .offset:         96
        .size:           8
        .value_kind:     global_buffer
    .group_segment_fixed_size: 18304
    .kernarg_segment_align: 8
    .kernarg_segment_size: 104
    .language:       OpenCL C
    .language_version:
      - 2
      - 0
    .max_flat_workgroup_size: 104
    .name:           bluestein_single_back_len1144_dim1_dp_op_CI_CI
    .private_segment_fixed_size: 68
    .sgpr_count:     54
    .sgpr_spill_count: 0
    .symbol:         bluestein_single_back_len1144_dim1_dp_op_CI_CI.kd
    .uniform_work_group_size: 1
    .uses_dynamic_stack: false
    .vgpr_count:     256
    .vgpr_spill_count: 16
    .wavefront_size: 32
    .workgroup_processor_mode: 1
amdhsa.target:   amdgcn-amd-amdhsa--gfx1030
amdhsa.version:
  - 1
  - 2
...

	.end_amdgpu_metadata
